;; amdgpu-corpus repo=ROCm/rocFFT kind=compiled arch=gfx950 opt=O3
	.text
	.amdgcn_target "amdgcn-amd-amdhsa--gfx950"
	.amdhsa_code_object_version 6
	.protected	bluestein_single_back_len1920_dim1_dp_op_CI_CI ; -- Begin function bluestein_single_back_len1920_dim1_dp_op_CI_CI
	.globl	bluestein_single_back_len1920_dim1_dp_op_CI_CI
	.p2align	8
	.type	bluestein_single_back_len1920_dim1_dp_op_CI_CI,@function
bluestein_single_back_len1920_dim1_dp_op_CI_CI: ; @bluestein_single_back_len1920_dim1_dp_op_CI_CI
; %bb.0:
	s_load_dwordx4 s[4:7], s[0:1], 0x28
	v_mul_u32_u24_e32 v1, 0x223, v0
	v_lshrrev_b32_e32 v26, 16, v1
	v_mov_b32_e32 v19, 0
	v_lshl_add_u32 v20, s2, 1, v26
	v_mov_b32_e32 v21, v19
	s_waitcnt lgkmcnt(0)
	v_cmp_gt_u64_e32 vcc, s[4:5], v[20:21]
	s_and_saveexec_b64 s[2:3], vcc
	s_cbranch_execz .LBB0_23
; %bb.1:
	s_load_dwordx4 s[12:15], s[0:1], 0x18
	s_load_dwordx2 s[16:17], s[0:1], 0x0
	v_mul_lo_u16_e32 v1, 0x78, v26
	v_sub_u16_e32 v18, v0, v1
	v_mov_b32_e32 v2, s6
	s_waitcnt lgkmcnt(0)
	s_load_dwordx4 s[8:11], s[12:13], 0x0
	v_mov_b32_e32 v3, s7
	v_or_b32_e32 v14, 0x180, v18
	v_lshlrev_b32_e32 v40, 4, v18
	v_mov_b32_e32 v21, 0x1800
	s_waitcnt lgkmcnt(0)
	v_mad_u64_u32 v[0:1], s[2:3], s10, v20, 0
	v_mov_b32_e32 v4, v1
	v_mad_u64_u32 v[4:5], s[2:3], s11, v20, v[4:5]
	v_mov_b32_e32 v1, v4
	;; [unrolled: 2-line block ×4, first 2 shown]
	v_lshl_add_u64 v[24:25], v[0:1], 4, v[2:3]
	s_mul_i32 s2, s9, 0xc0
	s_mul_hi_u32 s3, s8, 0xc0
	v_lshl_add_u64 v[8:9], v[4:5], 4, v[24:25]
	s_add_i32 s3, s3, s2
	s_mul_i32 s2, s8, 0xc0
	v_lshl_add_u64 v[12:13], s[2:3], 4, v[8:9]
	global_load_dwordx4 v[4:7], v[8:9], off
	global_load_dwordx4 v[0:3], v[12:13], off
	global_load_dwordx4 v[84:87], v40, s[16:17]
	global_load_dwordx4 v[68:71], v40, s[16:17] offset:3072
	v_mad_u64_u32 v[8:9], s[4:5], s8, v14, 0
	v_mov_b32_e32 v10, v9
	v_or_b32_e32 v27, 0x300, v18
	v_mad_u64_u32 v[10:11], s[4:5], s9, v14, v[10:11]
	v_mad_u64_u32 v[32:33], s[4:5], s8, v21, v[12:13]
	;; [unrolled: 1-line block ×3, first 2 shown]
	v_mov_b32_e32 v41, v19
	v_mov_b32_e32 v9, v10
	s_mul_i32 s4, s9, 0x1800
	v_mov_b32_e32 v30, v29
	v_lshl_add_u64 v[16:17], s[16:17], 0, v[40:41]
	v_lshl_add_u64 v[8:9], v[8:9], 4, v[24:25]
	v_add_u32_e32 v33, s4, v33
	s_movk_i32 s5, 0x2000
	v_mad_u64_u32 v[30:31], s[6:7], s9, v27, v[30:31]
	v_accvgpr_write_b32 a1, v27
	v_lshlrev_b32_e32 v254, 4, v27
	v_or_b32_e32 v27, 0x480, v18
	global_load_dwordx4 v[8:11], v[8:9], off
	v_accvgpr_write_b32 a0, v14
	v_lshlrev_b32_e32 v255, 4, v14
	global_load_dwordx4 v[12:15], v[32:33], off
	v_add_co_u32_e32 v22, vcc, s5, v16
	v_mad_u64_u32 v[38:39], s[6:7], s8, v21, v[32:33]
	v_mad_u64_u32 v[32:33], s[6:7], s8, v27, 0
	v_addc_co_u32_e32 v23, vcc, 0, v17, vcc
	s_movk_i32 s5, 0x3000
	v_mov_b32_e32 v34, v33
	v_add_co_u32_e32 v44, vcc, s5, v16
	v_mad_u64_u32 v[34:35], s[6:7], s9, v27, v[34:35]
	global_load_dwordx4 v[96:99], v255, s[16:17]
	global_load_dwordx4 v[72:75], v[22:23], off offset:1024
	v_mov_b32_e32 v29, v30
	v_add_u32_e32 v39, s4, v39
	v_addc_co_u32_e32 v45, vcc, 0, v17, vcc
	v_mov_b32_e32 v33, v34
	s_movk_i32 s5, 0x5000
	v_lshl_add_u64 v[28:29], v[28:29], 4, v[24:25]
	v_lshl_add_u64 v[32:33], v[32:33], 4, v[24:25]
	v_accvgpr_write_b32 a2, v27
	v_lshlrev_b32_e32 v27, 4, v27
	v_mad_u64_u32 v[46:47], s[6:7], s8, v21, v[38:39]
	v_add_co_u32_e32 v42, vcc, s5, v16
	global_load_dwordx4 v[28:31], v[28:29], off
	s_nop 0
	global_load_dwordx4 v[100:103], v254, s[16:17]
	global_load_dwordx4 v[80:83], v[44:45], off offset:3072
	global_load_dwordx4 v[34:37], v[32:33], off
	v_add_u32_e32 v47, s4, v47
	global_load_dwordx4 v[48:51], v[38:39], off
	global_load_dwordx4 v[52:55], v[46:47], off
	v_addc_co_u32_e32 v43, vcc, 0, v17, vcc
	v_accvgpr_write_b32 a60, v27
	global_load_dwordx4 v[104:107], v27, s[16:17]
	global_load_dwordx4 v[88:91], v[42:43], off offset:1024
	v_or_b32_e32 v27, 0x600, v18
	v_mad_u64_u32 v[38:39], s[6:7], s8, v27, 0
	v_mov_b32_e32 v32, v39
	v_mad_u64_u32 v[56:57], s[6:7], s9, v27, v[32:33]
	v_mov_b32_e32 v39, v56
	v_lshl_add_u64 v[24:25], v[38:39], 4, v[24:25]
	global_load_dwordx4 v[56:59], v[24:25], off
	v_lshlrev_b32_e32 v24, 4, v27
	v_accvgpr_write_b32 a59, v24
	global_load_dwordx4 v[76:79], v24, s[16:17]
	v_mad_u64_u32 v[24:25], s[6:7], s8, v21, v[46:47]
	v_add_u32_e32 v25, s4, v25
	s_movk_i32 s4, 0x6000
	v_add_co_u32_e32 v46, vcc, s4, v16
	global_load_dwordx4 v[60:63], v[24:25], off
	s_nop 0
	v_addc_co_u32_e32 v47, vcc, 0, v17, vcc
	global_load_dwordx4 v[92:95], v[46:47], off offset:3072
	v_and_b32_e32 v21, 1, v26
	s_waitcnt vmcnt(17)
	v_mul_f64 v[64:65], v[6:7], v[86:87]
	v_mov_b32_e32 v26, 0x780
	v_cmp_eq_u32_e32 vcc, 1, v21
	v_fmac_f64_e32 v[64:65], v[4:5], v[84:85]
	v_mul_f64 v[4:5], v[4:5], v[86:87]
	v_cndmask_b32_e32 v230, 0, v26, vcc
	v_fma_f64 v[66:67], v[6:7], v[84:85], -v[4:5]
	s_waitcnt vmcnt(16)
	v_mul_f64 v[4:5], v[2:3], v[70:71]
	v_or_b32_e32 v21, v230, v18
	v_fmac_f64_e32 v[4:5], v[0:1], v[68:69]
	v_mul_f64 v[0:1], v[0:1], v[70:71]
	v_lshlrev_b32_e32 v21, 4, v21
	v_fma_f64 v[6:7], v[2:3], v[68:69], -v[0:1]
	s_load_dwordx2 s[10:11], s[0:1], 0x38
	s_load_dwordx4 s[4:7], s[14:15], 0x0
	v_accvgpr_write_b32 a44, v21
	ds_write_b128 v21, v[64:67]
	v_lshl_add_u32 v21, v230, 4, v40
	v_accvgpr_write_b32 a20, v84
	v_accvgpr_write_b32 a4, v68
	s_movk_i32 s12, 0x48
	v_accvgpr_write_b32 a3, v27
	v_accvgpr_write_b32 a21, v85
	;; [unrolled: 1-line block ×7, first 2 shown]
	v_cmp_gt_u16_e32 vcc, s12, v18
	ds_write_b128 v21, v[4:7] offset:3072
	s_waitcnt vmcnt(13)
	v_mul_f64 v[0:1], v[10:11], v[98:99]
	v_mul_f64 v[2:3], v[8:9], v[98:99]
	v_fmac_f64_e32 v[0:1], v[8:9], v[96:97]
	v_fma_f64 v[2:3], v[10:11], v[96:97], -v[2:3]
	ds_write_b128 v21, v[0:3] offset:6144
	s_waitcnt vmcnt(12)
	v_mul_f64 v[0:1], v[14:15], v[74:75]
	v_mul_f64 v[2:3], v[12:13], v[74:75]
	v_fmac_f64_e32 v[0:1], v[12:13], v[72:73]
	v_fma_f64 v[2:3], v[14:15], v[72:73], -v[2:3]
	ds_write_b128 v21, v[0:3] offset:9216
	v_accvgpr_write_b32 a32, v96
	v_accvgpr_write_b32 a8, v72
	;; [unrolled: 1-line block ×6, first 2 shown]
	s_waitcnt vmcnt(10)
	v_mul_f64 v[0:1], v[30:31], v[102:103]
	v_mul_f64 v[2:3], v[28:29], v[102:103]
	v_fmac_f64_e32 v[0:1], v[28:29], v[100:101]
	v_fma_f64 v[2:3], v[30:31], v[100:101], -v[2:3]
	ds_write_b128 v21, v[0:3] offset:12288
	s_waitcnt vmcnt(7)
	v_mul_f64 v[0:1], v[50:51], v[82:83]
	v_mul_f64 v[2:3], v[48:49], v[82:83]
	v_fmac_f64_e32 v[0:1], v[48:49], v[80:81]
	v_fma_f64 v[2:3], v[50:51], v[80:81], -v[2:3]
	ds_write_b128 v21, v[0:3] offset:15360
	;; [unrolled: 6-line block ×4, first 2 shown]
	s_waitcnt vmcnt(2)
	v_mul_f64 v[0:1], v[58:59], v[78:79]
	v_mul_f64 v[2:3], v[56:57], v[78:79]
	v_fmac_f64_e32 v[0:1], v[56:57], v[76:77]
	v_fma_f64 v[2:3], v[58:59], v[76:77], -v[2:3]
	v_accvgpr_write_b32 a36, v100
	v_accvgpr_write_b32 a16, v80
	;; [unrolled: 1-line block ×5, first 2 shown]
	ds_write_b128 v21, v[0:3] offset:24576
	s_waitcnt vmcnt(0)
	v_mul_f64 v[0:1], v[62:63], v[94:95]
	v_mul_f64 v[2:3], v[60:61], v[94:95]
	v_accvgpr_write_b32 a28, v92
	v_accvgpr_write_b32 a10, v74
	;; [unrolled: 1-line block ×18, first 2 shown]
	v_fmac_f64_e32 v[0:1], v[60:61], v[92:93]
	v_accvgpr_write_b32 a29, v93
	v_accvgpr_write_b32 a30, v94
	;; [unrolled: 1-line block ×3, first 2 shown]
	v_fma_f64 v[2:3], v[62:63], v[92:93], -v[2:3]
	ds_write_b128 v21, v[0:3] offset:27648
	s_and_saveexec_b64 s[12:13], vcc
	s_cbranch_execz .LBB0_3
; %bb.2:
	v_mov_b32_e32 v0, 0xffff9b80
	s_mulk_i32 s9, 0x9b80
	v_mad_u64_u32 v[8:9], s[14:15], s8, v0, v[24:25]
	s_sub_i32 s8, s9, s8
	v_add_u32_e32 v9, s8, v9
	s_lshl_b64 s[8:9], s[2:3], 4
	s_movk_i32 s2, 0x1000
	v_lshl_add_u64 v[24:25], v[8:9], 0, s[8:9]
	v_add_co_u32_e64 v34, s[2:3], s2, v16
	global_load_dwordx4 v[0:3], v[8:9], off
	global_load_dwordx4 v[4:7], v[16:17], off offset:1920
	v_addc_co_u32_e64 v35, s[2:3], 0, v17, s[2:3]
	v_lshl_add_u64 v[36:37], v[24:25], 0, s[8:9]
	global_load_dwordx4 v[8:11], v[24:25], off
	global_load_dwordx4 v[12:15], v[34:35], off offset:896
	v_lshl_add_u64 v[48:49], v[36:37], 0, s[8:9]
	global_load_dwordx4 v[24:27], v[36:37], off
	global_load_dwordx4 v[28:31], v[34:35], off offset:3968
	s_nop 0
	global_load_dwordx4 v[34:37], v[48:49], off
	global_load_dwordx4 v[38:41], v[22:23], off offset:2944
	v_lshl_add_u64 v[22:23], v[48:49], 0, s[8:9]
	s_movk_i32 s2, 0x4000
	global_load_dwordx4 v[48:51], v[22:23], off
	global_load_dwordx4 v[52:55], v[44:45], off offset:1920
	v_add_co_u32_e64 v44, s[2:3], s2, v16
	v_lshl_add_u64 v[22:23], v[22:23], 0, s[8:9]
	s_nop 0
	v_addc_co_u32_e64 v45, s[2:3], 0, v17, s[2:3]
	global_load_dwordx4 v[56:59], v[22:23], off
	global_load_dwordx4 v[60:63], v[44:45], off offset:896
	v_lshl_add_u64 v[22:23], v[22:23], 0, s[8:9]
	global_load_dwordx4 v[64:67], v[22:23], off
	global_load_dwordx4 v[68:71], v[44:45], off offset:3968
	v_lshl_add_u64 v[22:23], v[22:23], 0, s[8:9]
	;; [unrolled: 3-line block ×3, first 2 shown]
	s_movk_i32 s2, 0x7000
	global_load_dwordx4 v[42:45], v[22:23], off
	global_load_dwordx4 v[80:83], v[46:47], off offset:1920
	v_add_co_u32_e64 v46, s[2:3], s2, v16
	v_lshl_add_u64 v[22:23], v[22:23], 0, s[8:9]
	s_nop 0
	v_addc_co_u32_e64 v47, s[2:3], 0, v17, s[2:3]
	global_load_dwordx4 v[84:87], v[46:47], off offset:896
	global_load_dwordx4 v[88:91], v[22:23], off
	s_waitcnt vmcnt(18)
	v_mul_f64 v[92:93], v[2:3], v[6:7]
	v_mul_f64 v[6:7], v[0:1], v[6:7]
	v_fmac_f64_e32 v[92:93], v[0:1], v[4:5]
	v_fma_f64 v[94:95], v[2:3], v[4:5], -v[6:7]
	ds_write_b128 v21, v[92:95] offset:1920
	s_waitcnt vmcnt(16)
	v_mul_f64 v[0:1], v[10:11], v[14:15]
	v_mul_f64 v[2:3], v[8:9], v[14:15]
	v_fmac_f64_e32 v[0:1], v[8:9], v[12:13]
	v_fma_f64 v[2:3], v[10:11], v[12:13], -v[2:3]
	ds_write_b128 v21, v[0:3] offset:4992
	s_waitcnt vmcnt(12)
	v_mul_f64 v[0:1], v[36:37], v[40:41]
	v_mul_f64 v[2:3], v[34:35], v[40:41]
	;; [unrolled: 1-line block ×4, first 2 shown]
	v_fmac_f64_e32 v[0:1], v[34:35], v[38:39]
	v_fma_f64 v[2:3], v[36:37], v[38:39], -v[2:3]
	v_fmac_f64_e32 v[4:5], v[24:25], v[28:29]
	v_fma_f64 v[6:7], v[26:27], v[28:29], -v[6:7]
	ds_write_b128 v21, v[0:3] offset:11136
	s_waitcnt vmcnt(8)
	v_mul_f64 v[0:1], v[58:59], v[62:63]
	v_mul_f64 v[2:3], v[56:57], v[62:63]
	ds_write_b128 v21, v[4:7] offset:8064
	v_mul_f64 v[4:5], v[50:51], v[54:55]
	v_mul_f64 v[6:7], v[48:49], v[54:55]
	v_fmac_f64_e32 v[0:1], v[56:57], v[60:61]
	v_fma_f64 v[2:3], v[58:59], v[60:61], -v[2:3]
	v_fmac_f64_e32 v[4:5], v[48:49], v[52:53]
	v_fma_f64 v[6:7], v[50:51], v[52:53], -v[6:7]
	ds_write_b128 v21, v[0:3] offset:17280
	s_waitcnt vmcnt(4)
	v_mul_f64 v[0:1], v[74:75], v[78:79]
	v_mul_f64 v[2:3], v[72:73], v[78:79]
	ds_write_b128 v21, v[4:7] offset:14208
	v_mul_f64 v[4:5], v[66:67], v[70:71]
	v_mul_f64 v[6:7], v[64:65], v[70:71]
	v_fmac_f64_e32 v[0:1], v[72:73], v[76:77]
	v_fma_f64 v[2:3], v[74:75], v[76:77], -v[2:3]
	v_fmac_f64_e32 v[4:5], v[64:65], v[68:69]
	v_fma_f64 v[6:7], v[66:67], v[68:69], -v[6:7]
	ds_write_b128 v21, v[0:3] offset:23424
	s_waitcnt vmcnt(2)
	v_mul_f64 v[0:1], v[42:43], v[82:83]
	ds_write_b128 v21, v[4:7] offset:20352
	v_mul_f64 v[4:5], v[44:45], v[82:83]
	v_fma_f64 v[6:7], v[44:45], v[80:81], -v[0:1]
	s_waitcnt vmcnt(0)
	v_mul_f64 v[0:1], v[90:91], v[86:87]
	v_mul_f64 v[2:3], v[88:89], v[86:87]
	v_fmac_f64_e32 v[4:5], v[42:43], v[80:81]
	v_fmac_f64_e32 v[0:1], v[88:89], v[84:85]
	v_fma_f64 v[2:3], v[90:91], v[84:85], -v[2:3]
	ds_write_b128 v21, v[4:7] offset:26496
	ds_write_b128 v21, v[0:3] offset:29568
.LBB0_3:
	s_or_b64 exec, exec, s[12:13]
	v_accvgpr_read_b32 v0, a44
	s_waitcnt lgkmcnt(0)
	s_barrier
	ds_read_b128 v[72:75], v0
	ds_read_b128 v[84:87], v21 offset:3072
	ds_read_b128 v[104:107], v21 offset:6144
	;; [unrolled: 1-line block ×9, first 2 shown]
                                        ; implicit-def: $vgpr52_vgpr53
                                        ; implicit-def: $vgpr76_vgpr77
                                        ; implicit-def: $vgpr56_vgpr57
                                        ; implicit-def: $vgpr80_vgpr81
                                        ; implicit-def: $vgpr60_vgpr61
                                        ; implicit-def: $vgpr68_vgpr69
                                        ; implicit-def: $vgpr48_vgpr49
                                        ; implicit-def: $vgpr64_vgpr65
                                        ; implicit-def: $vgpr44_vgpr45
                                        ; implicit-def: $vgpr40_vgpr41
	s_and_saveexec_b64 s[2:3], vcc
	s_cbranch_execz .LBB0_5
; %bb.4:
	ds_read_b128 v[40:43], v21 offset:1920
	ds_read_b128 v[44:47], v21 offset:4992
	;; [unrolled: 1-line block ×10, first 2 shown]
.LBB0_5:
	s_or_b64 exec, exec, s[2:3]
	s_waitcnt lgkmcnt(7)
	v_add_f64 v[12:13], v[72:73], v[104:105]
	s_waitcnt lgkmcnt(5)
	v_add_f64 v[12:13], v[12:13], v[0:1]
	s_load_dwordx2 s[8:9], s[0:1], 0x8
	s_mov_b64 s[0:1], 0x78
	s_waitcnt lgkmcnt(0)
	v_add_f64 v[12:13], v[12:13], v[4:5]
	v_lshl_add_u64 v[22:23], v[18:19], 0, s[0:1]
	v_add_f64 v[24:25], v[12:13], v[8:9]
	v_add_f64 v[12:13], v[0:1], v[4:5]
	s_mov_b32 s0, 0x134454ff
	v_fma_f64 v[26:27], -0.5, v[12:13], v[72:73]
	v_add_f64 v[12:13], v[106:107], -v[10:11]
	s_mov_b32 s1, 0x3fee6f0e
	s_mov_b32 s2, 0x4755a5e
	;; [unrolled: 1-line block ×4, first 2 shown]
	v_fma_f64 v[28:29], s[0:1], v[12:13], v[26:27]
	v_add_f64 v[14:15], v[2:3], -v[6:7]
	s_mov_b32 s3, 0x3fe2cf23
	v_add_f64 v[30:31], v[104:105], -v[0:1]
	v_add_f64 v[34:35], v[8:9], -v[4:5]
	s_mov_b32 s12, 0x372fe950
	v_fmac_f64_e32 v[26:27], s[14:15], v[12:13]
	s_mov_b32 s19, 0xbfe2cf23
	s_mov_b32 s18, s2
	v_fmac_f64_e32 v[28:29], s[2:3], v[14:15]
	v_add_f64 v[30:31], v[30:31], v[34:35]
	s_mov_b32 s13, 0x3fd3c6ef
	v_fmac_f64_e32 v[26:27], s[18:19], v[14:15]
	v_fmac_f64_e32 v[28:29], s[12:13], v[30:31]
	;; [unrolled: 1-line block ×3, first 2 shown]
	v_add_f64 v[30:31], v[104:105], v[8:9]
	v_fmac_f64_e32 v[72:73], -0.5, v[30:31]
	v_fma_f64 v[30:31], s[14:15], v[14:15], v[72:73]
	v_fmac_f64_e32 v[72:73], s[0:1], v[14:15]
	v_fmac_f64_e32 v[30:31], s[2:3], v[12:13]
	;; [unrolled: 1-line block ×3, first 2 shown]
	v_add_f64 v[12:13], v[74:75], v[106:107]
	v_add_f64 v[34:35], v[0:1], -v[104:105]
	v_add_f64 v[36:37], v[4:5], -v[8:9]
	v_add_f64 v[12:13], v[12:13], v[2:3]
	v_add_f64 v[34:35], v[34:35], v[36:37]
	;; [unrolled: 1-line block ×3, first 2 shown]
	v_fmac_f64_e32 v[30:31], s[12:13], v[34:35]
	v_fmac_f64_e32 v[72:73], s[12:13], v[34:35]
	v_add_f64 v[34:35], v[12:13], v[10:11]
	v_add_f64 v[12:13], v[2:3], v[6:7]
	v_fma_f64 v[36:37], -0.5, v[12:13], v[74:75]
	v_add_f64 v[8:9], v[104:105], -v[8:9]
	v_fma_f64 v[38:39], s[14:15], v[8:9], v[36:37]
	v_add_f64 v[0:1], v[0:1], -v[4:5]
	v_add_f64 v[4:5], v[106:107], -v[2:3]
	;; [unrolled: 1-line block ×3, first 2 shown]
	v_fmac_f64_e32 v[36:37], s[0:1], v[8:9]
	v_fmac_f64_e32 v[38:39], s[18:19], v[0:1]
	v_add_f64 v[4:5], v[4:5], v[12:13]
	v_fmac_f64_e32 v[36:37], s[2:3], v[0:1]
	v_fmac_f64_e32 v[38:39], s[12:13], v[4:5]
	;; [unrolled: 1-line block ×3, first 2 shown]
	v_add_f64 v[4:5], v[106:107], v[10:11]
	v_fmac_f64_e32 v[74:75], -0.5, v[4:5]
	v_fma_f64 v[104:105], s[0:1], v[0:1], v[74:75]
	v_fmac_f64_e32 v[74:75], s[14:15], v[0:1]
	v_add_f64 v[0:1], v[84:85], v[88:89]
	v_add_f64 v[0:1], v[0:1], v[92:93]
	;; [unrolled: 1-line block ×3, first 2 shown]
	v_add_f64 v[2:3], v[2:3], -v[106:107]
	v_add_f64 v[4:5], v[6:7], -v[10:11]
	v_add_f64 v[106:107], v[0:1], v[100:101]
	v_add_f64 v[0:1], v[92:93], v[96:97]
	v_fmac_f64_e32 v[104:105], s[18:19], v[8:9]
	v_add_f64 v[2:3], v[2:3], v[4:5]
	v_fmac_f64_e32 v[74:75], s[2:3], v[8:9]
	v_fma_f64 v[10:11], -0.5, v[0:1], v[84:85]
	v_add_f64 v[0:1], v[90:91], -v[102:103]
	v_fmac_f64_e32 v[104:105], s[12:13], v[2:3]
	v_fmac_f64_e32 v[74:75], s[12:13], v[2:3]
	v_fma_f64 v[6:7], s[0:1], v[0:1], v[10:11]
	v_add_f64 v[2:3], v[94:95], -v[98:99]
	v_add_f64 v[4:5], v[88:89], -v[92:93]
	;; [unrolled: 1-line block ×3, first 2 shown]
	v_fmac_f64_e32 v[10:11], s[14:15], v[0:1]
	v_fmac_f64_e32 v[6:7], s[2:3], v[2:3]
	v_add_f64 v[4:5], v[4:5], v[8:9]
	v_fmac_f64_e32 v[10:11], s[18:19], v[2:3]
	v_fmac_f64_e32 v[6:7], s[12:13], v[4:5]
	;; [unrolled: 1-line block ×3, first 2 shown]
	v_add_f64 v[4:5], v[88:89], v[100:101]
	v_fmac_f64_e32 v[84:85], -0.5, v[4:5]
	v_fma_f64 v[14:15], s[14:15], v[2:3], v[84:85]
	v_fmac_f64_e32 v[84:85], s[0:1], v[2:3]
	v_fmac_f64_e32 v[14:15], s[2:3], v[0:1]
	;; [unrolled: 1-line block ×3, first 2 shown]
	v_add_f64 v[0:1], v[86:87], v[90:91]
	v_add_f64 v[0:1], v[0:1], v[94:95]
	;; [unrolled: 1-line block ×3, first 2 shown]
	v_add_f64 v[4:5], v[92:93], -v[88:89]
	v_add_f64 v[8:9], v[96:97], -v[100:101]
	v_add_f64 v[108:109], v[0:1], v[102:103]
	v_add_f64 v[0:1], v[94:95], v[98:99]
	;; [unrolled: 1-line block ×3, first 2 shown]
	v_fma_f64 v[110:111], -0.5, v[0:1], v[86:87]
	v_add_f64 v[0:1], v[88:89], -v[100:101]
	v_fmac_f64_e32 v[14:15], s[12:13], v[4:5]
	v_fmac_f64_e32 v[84:85], s[12:13], v[4:5]
	v_fma_f64 v[100:101], s[14:15], v[0:1], v[110:111]
	v_add_f64 v[2:3], v[92:93], -v[96:97]
	v_add_f64 v[4:5], v[90:91], -v[94:95]
	;; [unrolled: 1-line block ×3, first 2 shown]
	v_fmac_f64_e32 v[110:111], s[0:1], v[0:1]
	v_fmac_f64_e32 v[100:101], s[18:19], v[2:3]
	v_add_f64 v[4:5], v[4:5], v[8:9]
	v_fmac_f64_e32 v[110:111], s[2:3], v[2:3]
	v_fmac_f64_e32 v[100:101], s[12:13], v[4:5]
	;; [unrolled: 1-line block ×3, first 2 shown]
	v_add_f64 v[4:5], v[90:91], v[102:103]
	v_fmac_f64_e32 v[86:87], -0.5, v[4:5]
	v_fma_f64 v[92:93], s[0:1], v[2:3], v[86:87]
	v_add_f64 v[4:5], v[94:95], -v[90:91]
	v_add_f64 v[8:9], v[98:99], -v[102:103]
	v_fmac_f64_e32 v[92:93], s[18:19], v[0:1]
	v_add_f64 v[4:5], v[4:5], v[8:9]
	v_fmac_f64_e32 v[86:87], s[14:15], v[2:3]
	s_mov_b32 s20, 0x9b97f4a8
	v_fmac_f64_e32 v[92:93], s[12:13], v[4:5]
	v_fmac_f64_e32 v[86:87], s[2:3], v[0:1]
	v_add_f64 v[0:1], v[24:25], v[106:107]
	s_mov_b32 s21, 0x3fe9e377
	v_add_f64 v[112:113], v[24:25], -v[106:107]
	v_add_f64 v[24:25], v[64:65], v[40:41]
	v_fmac_f64_e32 v[86:87], s[12:13], v[4:5]
	v_mul_f64 v[94:95], v[6:7], s[20:21]
	v_mul_f64 v[98:99], v[92:93], s[0:1]
	;; [unrolled: 1-line block ×4, first 2 shown]
	v_add_f64 v[24:25], v[68:69], v[24:25]
	v_fmac_f64_e32 v[94:95], s[2:3], v[100:101]
	v_fmac_f64_e32 v[98:99], s[12:13], v[14:15]
	v_fma_f64 v[102:103], v[86:87], s[0:1], -v[2:3]
	v_mul_f64 v[2:3], v[10:11], s[20:21]
	v_fmac_f64_e32 v[116:117], s[20:21], v[100:101]
	v_mul_f64 v[100:101], v[14:15], s[14:15]
	v_mul_f64 v[14:15], v[86:87], s[12:13]
	v_add_f64 v[24:25], v[76:77], v[24:25]
	v_fma_f64 v[114:115], v[110:111], s[2:3], -v[2:3]
	v_fma_f64 v[86:87], v[84:85], s[14:15], -v[14:15]
	v_mul_f64 v[84:85], v[110:111], s[20:21]
	v_add_f64 v[136:137], v[80:81], v[24:25]
	v_add_f64 v[24:25], v[76:77], v[68:69]
	;; [unrolled: 1-line block ×5, first 2 shown]
	v_fma_f64 v[110:111], v[10:11], s[18:19], -v[84:85]
	v_add_f64 v[84:85], v[72:73], -v[102:103]
	v_add_f64 v[72:73], v[26:27], -v[114:115]
	;; [unrolled: 1-line block ×3, first 2 shown]
	v_fma_f64 v[34:35], -0.5, v[24:25], v[40:41]
	v_add_f64 v[24:25], v[66:67], -v[82:83]
	v_add_f64 v[4:5], v[28:29], v[94:95]
	v_add_f64 v[88:89], v[30:31], v[98:99]
	v_fmac_f64_e32 v[100:101], s[12:13], v[92:93]
	v_add_f64 v[96:97], v[28:29], -v[94:95]
	v_add_f64 v[92:93], v[30:31], -v[98:99]
	v_fma_f64 v[138:139], s[0:1], v[24:25], v[34:35]
	v_add_f64 v[26:27], v[70:71], -v[78:79]
	v_add_f64 v[28:29], v[64:65], -v[68:69]
	;; [unrolled: 1-line block ×3, first 2 shown]
	v_fmac_f64_e32 v[34:35], s[14:15], v[24:25]
	v_fmac_f64_e32 v[138:139], s[2:3], v[26:27]
	v_add_f64 v[28:29], v[30:31], v[28:29]
	v_fmac_f64_e32 v[34:35], s[18:19], v[26:27]
	v_fmac_f64_e32 v[138:139], s[12:13], v[28:29]
	;; [unrolled: 1-line block ×3, first 2 shown]
	v_add_f64 v[28:29], v[80:81], v[64:65]
	v_fmac_f64_e32 v[40:41], -0.5, v[28:29]
	v_add_f64 v[14:15], v[74:75], v[86:87]
	v_add_f64 v[10:11], v[36:37], v[110:111]
	v_add_f64 v[86:87], v[74:75], -v[86:87]
	v_add_f64 v[74:75], v[36:37], -v[110:111]
	v_fma_f64 v[36:37], s[14:15], v[26:27], v[40:41]
	v_add_f64 v[28:29], v[68:69], -v[64:65]
	v_add_f64 v[30:31], v[76:77], -v[80:81]
	v_fmac_f64_e32 v[40:41], s[0:1], v[26:27]
	v_fmac_f64_e32 v[36:37], s[2:3], v[24:25]
	v_add_f64 v[28:29], v[30:31], v[28:29]
	v_fmac_f64_e32 v[40:41], s[18:19], v[24:25]
	v_add_f64 v[26:27], v[78:79], v[70:71]
	v_add_f64 v[6:7], v[38:39], v[116:117]
	v_add_f64 v[98:99], v[38:39], -v[116:117]
	v_fmac_f64_e32 v[36:37], s[12:13], v[28:29]
	v_fmac_f64_e32 v[40:41], s[12:13], v[28:29]
	v_fma_f64 v[38:39], -0.5, v[26:27], v[42:43]
	v_add_f64 v[28:29], v[64:65], -v[80:81]
	v_fma_f64 v[26:27], s[14:15], v[28:29], v[38:39]
	v_add_f64 v[30:31], v[68:69], -v[76:77]
	v_add_f64 v[64:65], v[66:67], -v[70:71]
	;; [unrolled: 1-line block ×3, first 2 shown]
	v_fmac_f64_e32 v[38:39], s[0:1], v[28:29]
	v_fmac_f64_e32 v[26:27], s[18:19], v[30:31]
	v_add_f64 v[64:65], v[68:69], v[64:65]
	v_fmac_f64_e32 v[38:39], s[2:3], v[30:31]
	v_fmac_f64_e32 v[26:27], s[12:13], v[64:65]
	;; [unrolled: 1-line block ×3, first 2 shown]
	v_add_f64 v[64:65], v[82:83], v[66:67]
	v_add_f64 v[24:25], v[66:67], v[42:43]
	v_fmac_f64_e32 v[42:43], -0.5, v[64:65]
	v_fma_f64 v[64:65], s[0:1], v[30:31], v[42:43]
	v_add_f64 v[66:67], v[70:71], -v[66:67]
	v_add_f64 v[68:69], v[78:79], -v[82:83]
	v_fmac_f64_e32 v[42:43], s[14:15], v[30:31]
	v_fmac_f64_e32 v[64:65], s[18:19], v[28:29]
	v_add_f64 v[66:67], v[68:69], v[66:67]
	v_fmac_f64_e32 v[42:43], s[2:3], v[28:29]
	v_add_f64 v[30:31], v[52:53], v[56:57]
	v_add_f64 v[24:25], v[70:71], v[24:25]
	v_fmac_f64_e32 v[64:65], s[12:13], v[66:67]
	v_fmac_f64_e32 v[42:43], s[12:13], v[66:67]
	v_fma_f64 v[66:67], -0.5, v[30:31], v[44:45]
	v_add_f64 v[30:31], v[50:51], -v[62:63]
	v_add_f64 v[24:25], v[78:79], v[24:25]
	v_fma_f64 v[68:69], s[0:1], v[30:31], v[66:67]
	v_add_f64 v[70:71], v[54:55], -v[58:59]
	v_add_f64 v[76:77], v[48:49], -v[52:53]
	;; [unrolled: 1-line block ×3, first 2 shown]
	v_fmac_f64_e32 v[66:67], s[14:15], v[30:31]
	v_fmac_f64_e32 v[68:69], s[2:3], v[70:71]
	v_add_f64 v[76:77], v[78:79], v[76:77]
	v_fmac_f64_e32 v[66:67], s[18:19], v[70:71]
	v_fmac_f64_e32 v[68:69], s[12:13], v[76:77]
	;; [unrolled: 1-line block ×3, first 2 shown]
	v_add_f64 v[76:77], v[60:61], v[48:49]
	v_add_f64 v[28:29], v[48:49], v[44:45]
	v_fmac_f64_e32 v[44:45], -0.5, v[76:77]
	v_add_f64 v[28:29], v[52:53], v[28:29]
	v_fma_f64 v[76:77], s[14:15], v[70:71], v[44:45]
	v_add_f64 v[78:79], v[52:53], -v[48:49]
	v_add_f64 v[80:81], v[56:57], -v[60:61]
	v_fmac_f64_e32 v[44:45], s[0:1], v[70:71]
	v_add_f64 v[70:71], v[54:55], v[58:59]
	v_add_f64 v[28:29], v[56:57], v[28:29]
	v_fmac_f64_e32 v[76:77], s[2:3], v[30:31]
	v_add_f64 v[78:79], v[80:81], v[78:79]
	v_fmac_f64_e32 v[44:45], s[18:19], v[30:31]
	v_fma_f64 v[70:71], -0.5, v[70:71], v[46:47]
	v_add_f64 v[48:49], v[48:49], -v[60:61]
	v_add_f64 v[28:29], v[60:61], v[28:29]
	v_fmac_f64_e32 v[76:77], s[12:13], v[78:79]
	v_fmac_f64_e32 v[44:45], s[12:13], v[78:79]
	v_fma_f64 v[60:61], s[14:15], v[48:49], v[70:71]
	v_add_f64 v[52:53], v[52:53], -v[56:57]
	v_add_f64 v[56:57], v[50:51], -v[54:55]
	;; [unrolled: 1-line block ×3, first 2 shown]
	v_fmac_f64_e32 v[70:71], s[0:1], v[48:49]
	v_fmac_f64_e32 v[60:61], s[18:19], v[52:53]
	v_add_f64 v[56:57], v[78:79], v[56:57]
	v_fmac_f64_e32 v[70:71], s[2:3], v[52:53]
	v_fmac_f64_e32 v[60:61], s[12:13], v[56:57]
	;; [unrolled: 1-line block ×3, first 2 shown]
	v_add_f64 v[56:57], v[62:63], v[50:51]
	v_add_f64 v[30:31], v[50:51], v[46:47]
	v_fmac_f64_e32 v[46:47], -0.5, v[56:57]
	v_add_f64 v[30:31], v[54:55], v[30:31]
	v_fma_f64 v[56:57], s[0:1], v[52:53], v[46:47]
	v_add_f64 v[50:51], v[54:55], -v[50:51]
	v_add_f64 v[54:55], v[58:59], -v[62:63]
	v_fmac_f64_e32 v[46:47], s[14:15], v[52:53]
	v_fmac_f64_e32 v[56:57], s[18:19], v[48:49]
	v_add_f64 v[50:51], v[54:55], v[50:51]
	v_fmac_f64_e32 v[46:47], s[2:3], v[48:49]
	v_fmac_f64_e32 v[56:57], s[12:13], v[50:51]
	;; [unrolled: 1-line block ×3, first 2 shown]
	v_mul_f64 v[50:51], v[44:45], s[12:13]
	v_fma_f64 v[54:55], v[46:47], s[0:1], -v[50:51]
	v_mul_f64 v[50:51], v[66:67], s[20:21]
	v_add_f64 v[30:31], v[58:59], v[30:31]
	v_fma_f64 v[58:59], v[70:71], s[2:3], -v[50:51]
	v_mul_f64 v[50:51], v[68:69], s[18:19]
	v_mul_f64 v[46:47], v[46:47], s[12:13]
	v_mul_lo_u16_e32 v19, 10, v18
	v_mul_f64 v[48:49], v[60:61], s[2:3]
	v_mul_f64 v[52:53], v[56:57], s[0:1]
	v_fmac_f64_e32 v[50:51], s[20:21], v[60:61]
	v_mul_f64 v[60:61], v[76:77], s[14:15]
	v_fma_f64 v[44:45], v[44:45], s[14:15], -v[46:47]
	v_mul_f64 v[46:47], v[70:71], s[20:21]
	v_add_lshl_u32 v19, v230, v19, 4
	v_add_f64 v[90:91], v[104:105], v[100:101]
	v_add_f64 v[94:95], v[104:105], -v[100:101]
	v_add_f64 v[24:25], v[82:83], v[24:25]
	v_add_f64 v[30:31], v[62:63], v[30:31]
	v_fmac_f64_e32 v[48:49], s[20:21], v[68:69]
	v_fmac_f64_e32 v[52:53], s[12:13], v[76:77]
	;; [unrolled: 1-line block ×3, first 2 shown]
	v_fma_f64 v[46:47], v[66:67], s[18:19], -v[46:47]
	s_barrier
	ds_write_b128 v19, v[0:3]
	ds_write_b128 v19, v[4:7] offset:16
	ds_write_b128 v19, v[88:91] offset:32
	;; [unrolled: 1-line block ×9, first 2 shown]
	v_mul_u32_u24_e32 v0, 10, v22
	v_add_f64 v[108:109], v[36:37], v[52:53]
	v_add_f64 v[116:117], v[40:41], v[54:55]
	;; [unrolled: 1-line block ×6, first 2 shown]
	v_add_f64 v[124:125], v[136:137], -v[28:29]
	v_add_f64 v[132:133], v[138:139], -v[48:49]
	;; [unrolled: 1-line block ×10, first 2 shown]
	v_accvgpr_write_b32 a45, v0
	s_and_saveexec_b64 s[0:1], vcc
	s_cbranch_execz .LBB0_7
; %bb.6:
	v_accvgpr_read_b32 v8, a45
	v_add_f64 v[6:7], v[30:31], v[24:25]
	v_add_f64 v[4:5], v[28:29], v[136:137]
	v_add_lshl_u32 v8, v230, v8, 4
	v_add_f64 v[2:3], v[26:27], v[50:51]
	v_add_f64 v[0:1], v[138:139], v[48:49]
	ds_write_b128 v8, v[4:7]
	ds_write_b128 v8, v[0:3] offset:16
	ds_write_b128 v8, v[108:111] offset:32
	;; [unrolled: 1-line block ×9, first 2 shown]
.LBB0_7:
	s_or_b64 exec, exec, s[0:1]
	v_accvgpr_read_b32 v0, a44
	s_waitcnt lgkmcnt(0)
	s_barrier
	ds_read_b128 v[136:139], v0
	ds_read_b128 v[112:115], v21 offset:1920
	ds_read_b128 v[160:163], v21 offset:5120
	;; [unrolled: 1-line block ×11, first 2 shown]
	s_movk_i32 s12, 0x50
	v_cmp_gt_u16_e64 s[0:1], s12, v18
	s_and_saveexec_b64 s[2:3], s[0:1]
	s_cbranch_execz .LBB0_9
; %bb.8:
	ds_read_b128 v[108:111], v21 offset:3840
	ds_read_b128 v[116:119], v21 offset:8960
	;; [unrolled: 1-line block ×6, first 2 shown]
.LBB0_9:
	s_or_b64 exec, exec, s[2:3]
	s_movk_i32 s13, 0xcd
	v_mul_lo_u16_sdwa v0, v18, s13 dst_sel:DWORD dst_unused:UNUSED_PAD src0_sel:BYTE_0 src1_sel:DWORD
	v_mul_lo_u16_sdwa v4, v22, s13 dst_sel:DWORD dst_unused:UNUSED_PAD src0_sel:BYTE_0 src1_sel:DWORD
	v_lshrrev_b16_e32 v32, 11, v0
	v_lshrrev_b16_e32 v44, 11, v4
	v_mul_lo_u16_e32 v0, 10, v32
	v_mul_lo_u16_e32 v4, 10, v44
	v_sub_u16_e32 v0, v18, v0
	v_sub_u16_e32 v4, v22, v4
	v_and_b32_e32 v33, 0xff, v0
	v_mov_b64_e32 v[0:1], s[8:9]
	v_and_b32_e32 v45, 0xff, v4
	v_mad_u64_u32 v[2:3], s[2:3], v33, s12, v[0:1]
	v_mad_u64_u32 v[0:1], s[2:3], v45, s12, v[0:1]
	global_load_dwordx4 v[60:63], v[2:3], off offset:48
	global_load_dwordx4 v[64:67], v[2:3], off offset:32
	;; [unrolled: 1-line block ×3, first 2 shown]
	global_load_dwordx4 v[72:75], v[2:3], off
	global_load_dwordx4 v[76:79], v[0:1], off offset:32
	global_load_dwordx4 v[84:87], v[0:1], off offset:16
	;; [unrolled: 1-line block ×3, first 2 shown]
	global_load_dwordx4 v[92:95], v[0:1], off
	global_load_dwordx4 v[80:83], v[0:1], off offset:48
	global_load_dwordx4 v[96:99], v[0:1], off offset:64
	v_add_u16_e32 v0, 0xf0, v18
	v_mul_u32_u24_e32 v1, 0xcccd, v0
	v_lshrrev_b32_e32 v46, 19, v1
	v_mul_lo_u16_e32 v1, 10, v46
	v_sub_u16_e32 v47, v0, v1
	v_mul_lo_u16_e32 v22, 0x50, v47
	v_mov_b32_e32 v23, 0
	v_lshl_add_u64 v[0:1], s[8:9], 0, v[22:23]
	global_load_dwordx4 v[48:51], v[0:1], off
	global_load_dwordx4 v[52:55], v[0:1], off offset:16
	global_load_dwordx4 v[196:199], v[0:1], off offset:32
	;; [unrolled: 1-line block ×4, first 2 shown]
	s_mov_b32 s2, 0xe8584caa
	s_mov_b32 s3, 0x3febb67a
	;; [unrolled: 1-line block ×4, first 2 shown]
	v_mul_u32_u24_e32 v22, 60, v32
	v_add_u32_e32 v22, v22, v33
	s_waitcnt lgkmcnt(0)
	s_barrier
	s_waitcnt vmcnt(10)
	v_mul_f64 v[38:39], v[150:151], v[78:79]
	s_waitcnt vmcnt(9)
	v_mul_f64 v[36:37], v[146:147], v[86:87]
	v_mul_f64 v[10:11], v[174:175], v[62:63]
	;; [unrolled: 1-line block ×7, first 2 shown]
	v_fmac_f64_e32 v[24:25], v[162:163], v[72:73]
	v_fma_f64 v[162:163], v[164:165], v[68:69], -v[6:7]
	s_waitcnt vmcnt(4)
	v_mul_f64 v[190:191], v[118:119], v[50:51]
	v_fma_f64 v[144:145], v[144:145], v[84:85], -v[36:37]
	v_mul_f64 v[30:31], v[172:173], v[62:63]
	v_mul_f64 v[0:1], v[116:117], v[50:51]
	s_waitcnt vmcnt(0)
	v_mul_f64 v[36:37], v[130:131], v[58:59]
	v_mul_f64 v[192:193], v[122:123], v[54:55]
	v_fma_f64 v[160:161], v[160:161], v[72:73], -v[4:5]
	v_fmac_f64_e32 v[26:27], v[166:167], v[68:69]
	v_fma_f64 v[166:167], v[172:173], v[60:61], -v[10:11]
	v_fma_f64 v[4:5], v[116:117], v[48:49], -v[190:191]
	v_fma_f64 v[116:117], v[128:129], v[56:57], -v[36:37]
	v_add_f64 v[36:37], v[136:137], v[162:163]
	v_mul_f64 v[2:3], v[120:121], v[54:55]
	v_fmac_f64_e32 v[30:31], v[174:175], v[60:61]
	v_fma_f64 v[6:7], v[120:121], v[52:53], -v[192:193]
	v_add_f64 v[120:121], v[36:37], v[166:167]
	v_add_f64 v[36:37], v[162:163], v[166:167]
	v_mul_f64 v[8:9], v[170:171], v[66:67]
	v_mul_f64 v[28:29], v[168:169], v[66:67]
	;; [unrolled: 1-line block ×4, first 2 shown]
	v_fmac_f64_e32 v[136:137], -0.5, v[36:37]
	v_add_f64 v[36:37], v[26:27], -v[30:31]
	v_mul_f64 v[34:35], v[176:177], v[90:91]
	v_fma_f64 v[164:165], v[168:169], v[64:65], -v[8:9]
	v_fmac_f64_e32 v[28:29], v[170:171], v[64:65]
	v_fma_f64 v[168:169], v[176:177], v[88:89], -v[12:13]
	v_fma_f64 v[170:171], v[140:141], v[92:93], -v[14:15]
	v_fmac_f64_e32 v[2:3], v[122:123], v[52:53]
	v_mul_f64 v[14:15], v[132:133], v[202:203]
	v_fma_f64 v[122:123], s[2:3], v[36:37], v[136:137]
	v_fmac_f64_e32 v[136:137], s[12:13], v[36:37]
	v_add_f64 v[36:37], v[138:139], v[26:27]
	v_add_f64 v[26:27], v[26:27], v[30:31]
	v_fmac_f64_e32 v[34:35], v[178:179], v[88:89]
	v_mul_f64 v[10:11], v[134:135], v[202:203]
	v_fmac_f64_e32 v[14:15], v[134:135], v[200:201]
	v_add_f64 v[134:135], v[36:37], v[30:31]
	v_fmac_f64_e32 v[138:139], -0.5, v[26:27]
	v_add_f64 v[26:27], v[162:163], -v[166:167]
	v_add_f64 v[36:37], v[164:165], v[168:169]
	v_mul_f64 v[12:13], v[124:125], v[198:199]
	v_fma_f64 v[30:31], s[12:13], v[26:27], v[138:139]
	v_fmac_f64_e32 v[138:139], s[2:3], v[26:27]
	v_add_f64 v[26:27], v[160:161], v[164:165]
	v_fmac_f64_e32 v[160:161], -0.5, v[36:37]
	v_add_f64 v[36:37], v[28:29], -v[34:35]
	v_mul_f64 v[194:195], v[126:127], v[198:199]
	v_fmac_f64_e32 v[12:13], v[126:127], v[196:197]
	v_fma_f64 v[126:127], s[2:3], v[36:37], v[160:161]
	v_fmac_f64_e32 v[160:161], s[12:13], v[36:37]
	v_add_f64 v[36:37], v[24:25], v[28:29]
	v_add_f64 v[28:29], v[28:29], v[34:35]
	v_mul_f64 v[40:41], v[140:141], v[94:95]
	v_mul_f64 v[182:183], v[154:155], v[82:83]
	v_fmac_f64_e32 v[24:25], -0.5, v[28:29]
	v_add_f64 v[28:29], v[164:165], -v[168:169]
	v_mul_f64 v[180:181], v[148:149], v[78:79]
	v_mul_f64 v[184:185], v[152:153], v[82:83]
	v_fmac_f64_e32 v[40:41], v[142:143], v[92:93]
	v_fmac_f64_e32 v[42:43], v[146:147], v[84:85]
	v_fma_f64 v[146:147], v[148:149], v[76:77], -v[38:39]
	v_fma_f64 v[148:149], v[152:153], v[80:81], -v[182:183]
	v_add_f64 v[142:143], v[36:37], v[34:35]
	v_fma_f64 v[34:35], s[12:13], v[28:29], v[24:25]
	v_fmac_f64_e32 v[24:25], s[2:3], v[28:29]
	v_mul_f64 v[152:153], v[160:161], -0.5
	v_fmac_f64_e32 v[184:185], v[154:155], v[80:81]
	v_add_f64 v[26:27], v[26:27], v[168:169]
	v_fmac_f64_e32 v[152:153], s[2:3], v[24:25]
	v_mul_f64 v[154:155], v[126:127], s[12:13]
	v_mul_f64 v[24:25], v[24:25], -0.5
	v_mul_f64 v[186:187], v[158:159], v[98:99]
	v_fmac_f64_e32 v[0:1], v[118:119], v[48:49]
	v_fma_f64 v[10:11], v[132:133], v[200:201], -v[10:11]
	v_mul_f64 v[118:119], v[128:129], v[58:59]
	v_add_f64 v[36:37], v[120:121], v[26:27]
	v_mul_f64 v[28:29], v[34:35], s[2:3]
	v_fmac_f64_e32 v[154:155], 0.5, v[34:35]
	v_fmac_f64_e32 v[24:25], s[12:13], v[160:161]
	v_add_f64 v[132:133], v[120:121], -v[26:27]
	v_add_f64 v[26:27], v[144:145], v[148:149]
	v_mul_f64 v[188:189], v[156:157], v[98:99]
	v_fmac_f64_e32 v[180:181], v[150:151], v[76:77]
	v_fma_f64 v[150:151], v[156:157], v[96:97], -v[186:187]
	v_fmac_f64_e32 v[118:119], v[130:131], v[56:57]
	v_fmac_f64_e32 v[28:29], 0.5, v[126:127]
	v_add_f64 v[38:39], v[134:135], v[142:143]
	v_add_f64 v[126:127], v[30:31], v[154:155]
	;; [unrolled: 1-line block ×3, first 2 shown]
	v_add_f64 v[134:135], v[134:135], -v[142:143]
	v_add_f64 v[142:143], v[30:31], -v[154:155]
	;; [unrolled: 1-line block ×3, first 2 shown]
	v_add_f64 v[24:25], v[112:113], v[144:145]
	v_fmac_f64_e32 v[112:113], -0.5, v[26:27]
	v_add_f64 v[26:27], v[42:43], -v[184:185]
	v_add_f64 v[30:31], v[42:43], v[184:185]
	v_fmac_f64_e32 v[188:189], v[158:159], v[96:97]
	v_fma_f64 v[8:9], v[124:125], v[196:197], -v[194:195]
	v_add_f64 v[124:125], v[122:123], v[28:29]
	v_add_f64 v[140:141], v[122:123], -v[28:29]
	v_fma_f64 v[28:29], s[2:3], v[26:27], v[112:113]
	v_fmac_f64_e32 v[112:113], s[12:13], v[26:27]
	v_add_f64 v[26:27], v[114:115], v[42:43]
	v_fmac_f64_e32 v[114:115], -0.5, v[30:31]
	v_add_f64 v[30:31], v[144:145], -v[148:149]
	v_add_f64 v[42:43], v[146:147], v[150:151]
	v_fma_f64 v[34:35], s[12:13], v[30:31], v[114:115]
	v_fmac_f64_e32 v[114:115], s[2:3], v[30:31]
	v_add_f64 v[30:31], v[170:171], v[146:147]
	v_fmac_f64_e32 v[170:171], -0.5, v[42:43]
	v_add_f64 v[42:43], v[180:181], -v[188:189]
	v_add_f64 v[122:123], v[180:181], v[188:189]
	;; [unrolled: 6-line block ×3, first 2 shown]
	v_fma_f64 v[150:151], s[12:13], v[122:123], v[40:41]
	v_add_f64 v[24:25], v[24:25], v[148:149]
	v_fmac_f64_e32 v[40:41], s[2:3], v[122:123]
	v_mul_f64 v[122:123], v[150:151], s[2:3]
	v_mul_f64 v[158:159], v[170:171], -0.5
	v_add_f64 v[26:27], v[26:27], v[184:185]
	v_add_f64 v[42:43], v[42:43], v[188:189]
	v_add_f64 v[144:145], v[24:25], v[30:31]
	v_fmac_f64_e32 v[122:123], 0.5, v[120:121]
	v_fmac_f64_e32 v[158:159], s[2:3], v[40:41]
	v_add_f64 v[156:157], v[24:25], -v[30:31]
	v_add_f64 v[24:25], v[6:7], v[10:11]
	v_add_f64 v[128:129], v[136:137], v[152:153]
	v_add_f64 v[136:137], v[136:137], -v[152:153]
	v_add_f64 v[148:149], v[28:29], v[122:123]
	v_add_f64 v[152:153], v[112:113], v[158:159]
	;; [unrolled: 1-line block ×3, first 2 shown]
	v_mul_f64 v[120:121], v[120:121], s[12:13]
	v_add_f64 v[160:161], v[28:29], -v[122:123]
	v_add_f64 v[164:165], v[112:113], -v[158:159]
	;; [unrolled: 1-line block ×3, first 2 shown]
	v_fma_f64 v[26:27], -0.5, v[24:25], v[108:109]
	v_add_f64 v[28:29], v[2:3], -v[14:15]
	v_fmac_f64_e32 v[120:121], 0.5, v[150:151]
	v_fma_f64 v[24:25], s[2:3], v[28:29], v[26:27]
	v_fmac_f64_e32 v[26:27], s[12:13], v[28:29]
	v_add_f64 v[28:29], v[2:3], v[14:15]
	v_add_f64 v[150:151], v[34:35], v[120:121]
	v_mul_f64 v[40:41], v[40:41], -0.5
	v_add_f64 v[162:163], v[34:35], -v[120:121]
	v_fma_f64 v[30:31], -0.5, v[28:29], v[110:111]
	v_add_f64 v[34:35], v[6:7], -v[10:11]
	v_fmac_f64_e32 v[40:41], s[12:13], v[170:171]
	v_fma_f64 v[28:29], s[12:13], v[34:35], v[30:31]
	v_fmac_f64_e32 v[30:31], s[2:3], v[34:35]
	v_add_f64 v[34:35], v[8:9], v[116:117]
	v_add_f64 v[154:155], v[114:115], v[40:41]
	v_add_f64 v[166:167], v[114:115], -v[40:41]
	v_fma_f64 v[34:35], -0.5, v[34:35], v[4:5]
	v_add_f64 v[40:41], v[12:13], -v[118:119]
	v_fma_f64 v[42:43], s[2:3], v[40:41], v[34:35]
	v_fmac_f64_e32 v[34:35], s[12:13], v[40:41]
	v_add_f64 v[40:41], v[12:13], v[118:119]
	v_fma_f64 v[40:41], -0.5, v[40:41], v[0:1]
	v_add_f64 v[112:113], v[8:9], -v[116:117]
	v_fma_f64 v[122:123], s[12:13], v[112:113], v[40:41]
	v_fmac_f64_e32 v[40:41], s[2:3], v[112:113]
	v_mul_f64 v[120:121], v[42:43], s[12:13]
	v_mul_f64 v[112:113], v[122:123], s[2:3]
	v_fmac_f64_e32 v[120:121], 0.5, v[122:123]
	v_mul_f64 v[122:123], v[40:41], -0.5
	v_mul_f64 v[114:115], v[34:35], -0.5
	v_fmac_f64_e32 v[122:123], s[12:13], v[34:35]
	v_add_lshl_u32 v35, v230, v22, 4
	v_mul_u32_u24_e32 v22, 60, v44
	v_add_u32_e32 v22, v22, v45
	v_accvgpr_write_b32 a46, v48
	v_accvgpr_write_b32 a50, v196
	;; [unrolled: 1-line block ×3, first 2 shown]
	v_fmac_f64_e32 v[112:113], 0.5, v[42:43]
	v_fmac_f64_e32 v[114:115], s[2:3], v[40:41]
	v_add_lshl_u32 v34, v230, v22, 4
	v_mad_legacy_u16 v22, v46, 60, v47
	v_accvgpr_write_b32 a47, v49
	v_accvgpr_write_b32 a48, v50
	v_accvgpr_write_b32 a49, v51
	v_accvgpr_write_b32 a51, v197
	v_accvgpr_write_b32 a52, v198
	v_accvgpr_write_b32 a53, v199
	v_accvgpr_write_b32 a55, v201
	v_accvgpr_write_b32 a56, v202
	v_accvgpr_write_b32 a57, v203
	v_add_f64 v[204:205], v[24:25], -v[112:113]
	v_add_f64 v[196:197], v[26:27], -v[114:115]
	;; [unrolled: 1-line block ×4, first 2 shown]
	v_accvgpr_write_b32 a58, v22
	ds_write_b128 v35, v[36:39]
	ds_write_b128 v35, v[124:127] offset:160
	ds_write_b128 v35, v[128:131] offset:320
	;; [unrolled: 1-line block ×5, first 2 shown]
	ds_write_b128 v34, v[144:147]
	ds_write_b128 v34, v[148:151] offset:160
	ds_write_b128 v34, v[152:155] offset:320
	;; [unrolled: 1-line block ×5, first 2 shown]
	s_and_saveexec_b64 s[2:3], s[0:1]
	s_cbranch_execz .LBB0_11
; %bb.10:
	v_add_f64 v[0:1], v[0:1], v[12:13]
	v_add_f64 v[12:13], v[0:1], v[118:119]
	;; [unrolled: 1-line block ×8, first 2 shown]
	v_accvgpr_read_b32 v22, a58
	v_add_f64 v[2:3], v[14:15], -v[12:13]
	v_add_f64 v[14:15], v[14:15], v[12:13]
	v_add_f64 v[12:13], v[36:37], v[38:39]
	v_add_lshl_u32 v22, v230, v22, 4
	v_add_f64 v[0:1], v[36:37], -v[38:39]
	v_add_f64 v[6:7], v[30:31], v[122:123]
	v_add_f64 v[10:11], v[28:29], v[120:121]
	;; [unrolled: 1-line block ×4, first 2 shown]
	ds_write_b128 v22, v[12:15]
	ds_write_b128 v22, v[8:11] offset:160
	ds_write_b128 v22, v[4:7] offset:320
	;; [unrolled: 1-line block ×5, first 2 shown]
.LBB0_11:
	s_or_b64 exec, exec, s[2:3]
	v_subrev_u32_e32 v22, 60, v18
	v_cmp_gt_u16_e64 s[2:3], 60, v18
	v_accvgpr_read_b32 v44, a44
	s_waitcnt lgkmcnt(0)
	v_cndmask_b32_e64 v22, v22, v18, s[2:3]
	v_mul_hi_i32_i24_e32 v41, 0xf0, v22
	v_mul_i32_i24_e32 v40, 0xf0, v22
	v_lshl_add_u64 v[216:217], s[8:9], 0, v[40:41]
	s_barrier
	ds_read_b128 v[168:171], v44
	ds_read_b128 v[24:27], v21 offset:1920
	ds_read_b128 v[28:31], v21 offset:3840
	;; [unrolled: 1-line block ×15, first 2 shown]
	global_load_dwordx4 v[108:111], v[216:217], off offset:848
	global_load_dwordx4 v[112:115], v[216:217], off offset:832
	global_load_dwordx4 v[116:119], v[216:217], off offset:816
	global_load_dwordx4 v[132:135], v[216:217], off offset:800
	s_mov_b32 s2, 0x667f3bcd
	s_mov_b32 s3, 0xbfe6a09e
	s_mov_b32 s15, 0x3fe6a09e
	s_mov_b32 s14, s2
	s_add_u32 s12, s16, 0x7800
	s_mov_b32 s18, 0xcf328d46
	s_addc_u32 s13, s17, 0
	s_mov_b32 s19, 0xbfed906b
	s_mov_b32 s16, 0xa6aea964
	s_mov_b32 s17, 0xbfd87de2
	s_mov_b32 s21, 0x3fd87de2
	s_mov_b32 s20, s16
	v_mov_b32_e32 v32, 0x3c0
	s_mov_b32 s23, 0x3fed906b
	s_mov_b32 s22, s18
	s_waitcnt vmcnt(3) lgkmcnt(11)
	v_mul_f64 v[210:211], v[120:121], v[110:111]
	v_fmac_f64_e32 v[210:211], v[122:123], v[108:109]
	s_waitcnt vmcnt(1)
	v_mul_f64 v[202:203], v[28:29], v[118:119]
	s_waitcnt vmcnt(0)
	v_mul_f64 v[40:41], v[26:27], v[134:135]
	v_fma_f64 v[188:189], v[24:25], v[132:133], -v[40:41]
	v_mul_f64 v[190:191], v[24:25], v[134:135]
	v_mul_f64 v[24:25], v[30:31], v[118:119]
	v_fma_f64 v[200:201], v[28:29], v[116:117], -v[24:25]
	v_mul_f64 v[24:25], v[38:39], v[114:115]
	v_fma_f64 v[192:193], v[36:37], v[112:113], -v[24:25]
	;; [unrolled: 2-line block ×3, first 2 shown]
	global_load_dwordx4 v[120:123], v[216:217], off offset:912
	global_load_dwordx4 v[124:127], v[216:217], off offset:896
	;; [unrolled: 1-line block ×8, first 2 shown]
	v_mul_f64 v[194:195], v[36:37], v[114:115]
	v_fmac_f64_e32 v[190:191], v[26:27], v[132:133]
	v_fmac_f64_e32 v[202:203], v[30:31], v[116:117]
	;; [unrolled: 1-line block ×3, first 2 shown]
	s_waitcnt vmcnt(3) lgkmcnt(3)
	v_mul_f64 v[224:225], v[152:153], v[138:139]
	v_mul_f64 v[214:215], v[8:9], v[130:131]
	;; [unrolled: 1-line block ×3, first 2 shown]
	v_fma_f64 v[212:213], v[12:13], v[148:149], -v[24:25]
	v_mul_f64 v[12:13], v[12:13], v[150:151]
	v_fmac_f64_e32 v[12:13], v[14:15], v[148:149]
	v_mul_f64 v[14:15], v[10:11], v[130:131]
	v_fma_f64 v[14:15], v[8:9], v[128:129], -v[14:15]
	v_mul_f64 v[8:9], v[6:7], v[126:127]
	v_fma_f64 v[8:9], v[4:5], v[124:125], -v[8:9]
	v_mul_f64 v[4:5], v[4:5], v[126:127]
	v_fmac_f64_e32 v[4:5], v[6:7], v[124:125]
	v_mul_f64 v[6:7], v[2:3], v[122:123]
	v_fma_f64 v[6:7], v[0:1], v[120:121], -v[6:7]
	v_mul_f64 v[0:1], v[0:1], v[122:123]
	s_waitcnt vmcnt(1)
	v_mul_f64 v[24:25], v[166:167], v[146:147]
	v_fmac_f64_e32 v[214:215], v[10:11], v[128:129]
	v_fmac_f64_e32 v[0:1], v[2:3], v[120:121]
	s_waitcnt vmcnt(0)
	v_mul_f64 v[2:3], v[186:187], v[162:163]
	v_mul_f64 v[10:11], v[184:185], v[162:163]
	v_fma_f64 v[218:219], v[164:165], v[144:145], -v[24:25]
	v_mul_f64 v[24:25], v[158:159], v[142:143]
	v_fma_f64 v[2:3], v[184:185], v[160:161], -v[2:3]
	v_fmac_f64_e32 v[10:11], v[186:187], v[160:161]
	v_mul_f64 v[220:221], v[164:165], v[146:147]
	v_fma_f64 v[184:185], v[156:157], v[140:141], -v[24:25]
	v_mul_f64 v[186:187], v[156:157], v[142:143]
	v_mul_f64 v[24:25], v[154:155], v[138:139]
	v_fmac_f64_e32 v[220:221], v[166:167], v[144:145]
	v_fmac_f64_e32 v[186:187], v[158:159], v[140:141]
	v_fma_f64 v[222:223], v[152:153], v[136:137], -v[24:25]
	v_fmac_f64_e32 v[224:225], v[154:155], v[136:137]
	global_load_dwordx4 v[152:155], v[216:217], off offset:1024
	global_load_dwordx4 v[156:159], v[216:217], off offset:1008
	;; [unrolled: 1-line block ×3, first 2 shown]
	v_add_f64 v[0:1], v[170:171], -v[0:1]
	v_add_f64 v[6:7], v[168:169], -v[6:7]
	v_fma_f64 v[42:43], v[170:171], 2.0, -v[0:1]
	v_add_f64 v[170:171], v[210:211], -v[224:225]
	v_add_f64 v[10:11], v[190:191], -v[10:11]
	;; [unrolled: 1-line block ×3, first 2 shown]
	v_fma_f64 v[40:41], v[168:169], 2.0, -v[6:7]
	v_add_f64 v[168:169], v[208:209], -v[222:223]
	v_add_f64 v[2:3], v[188:189], -v[2:3]
	v_fma_f64 v[190:191], v[190:191], 2.0, -v[10:11]
	v_add_f64 v[184:185], v[192:193], -v[184:185]
	v_fma_f64 v[194:195], v[194:195], 2.0, -v[186:187]
	v_fma_f64 v[188:189], v[188:189], 2.0, -v[2:3]
	;; [unrolled: 1-line block ×3, first 2 shown]
	s_waitcnt lgkmcnt(0)
	s_barrier
	s_waitcnt vmcnt(2)
	v_mul_f64 v[38:39], v[172:173], v[154:155]
	s_waitcnt vmcnt(1)
	v_mul_f64 v[30:31], v[176:177], v[158:159]
	;; [unrolled: 2-line block ×3, first 2 shown]
	v_mul_f64 v[24:25], v[182:183], v[166:167]
	v_fmac_f64_e32 v[26:27], v[182:183], v[164:165]
	v_mul_f64 v[28:29], v[178:179], v[158:159]
	v_fmac_f64_e32 v[30:31], v[178:179], v[156:157]
	;; [unrolled: 2-line block ×3, first 2 shown]
	v_fma_f64 v[24:25], v[180:181], v[164:165], -v[24:25]
	v_fma_f64 v[28:29], v[176:177], v[156:157], -v[28:29]
	;; [unrolled: 1-line block ×3, first 2 shown]
	v_add_f64 v[176:177], v[200:201], -v[218:219]
	v_add_f64 v[30:31], v[214:215], -v[30:31]
	;; [unrolled: 1-line block ×4, first 2 shown]
	v_fma_f64 v[174:175], v[210:211], 2.0, -v[170:171]
	v_add_f64 v[178:179], v[202:203], -v[220:221]
	v_fma_f64 v[180:181], v[200:201], 2.0, -v[176:177]
	v_add_f64 v[28:29], v[14:15], -v[28:29]
	;; [unrolled: 2-line block ×5, first 2 shown]
	v_add_f64 v[30:31], v[176:177], -v[30:31]
	v_fma_f64 v[172:173], v[208:209], 2.0, -v[168:169]
	v_fma_f64 v[182:183], v[202:203], 2.0, -v[178:179]
	;; [unrolled: 1-line block ×5, first 2 shown]
	v_add_f64 v[168:169], v[0:1], v[168:169]
	v_fma_f64 v[6:7], v[6:7], 2.0, -v[170:171]
	v_add_f64 v[28:29], v[178:179], v[28:29]
	v_fma_f64 v[176:177], v[176:177], 2.0, -v[30:31]
	v_add_f64 v[12:13], v[190:191], -v[12:13]
	v_add_f64 v[4:5], v[194:195], -v[4:5]
	v_fma_f64 v[0:1], v[0:1], 2.0, -v[168:169]
	v_fma_f64 v[178:179], v[178:179], 2.0, -v[28:29]
	v_add_f64 v[202:203], v[188:189], -v[202:203]
	v_fma_f64 v[190:191], v[190:191], 2.0, -v[12:13]
	v_add_f64 v[24:25], v[10:11], v[24:25]
	v_add_f64 v[8:9], v[192:193], -v[8:9]
	v_fma_f64 v[194:195], v[194:195], 2.0, -v[4:5]
	v_add_f64 v[36:37], v[186:187], v[36:37]
	v_fma_f64 v[208:209], s[2:3], v[176:177], v[6:7]
	v_fma_f64 v[188:189], v[188:189], 2.0, -v[202:203]
	v_add_f64 v[26:27], v[2:3], -v[26:27]
	v_fma_f64 v[10:11], v[10:11], 2.0, -v[24:25]
	v_fma_f64 v[192:193], v[192:193], 2.0, -v[8:9]
	v_add_f64 v[38:39], v[184:185], -v[38:39]
	v_fma_f64 v[186:187], v[186:187], 2.0, -v[36:37]
	v_fma_f64 v[210:211], s[2:3], v[178:179], v[0:1]
	v_fmac_f64_e32 v[208:209], s[2:3], v[178:179]
	v_add_f64 v[194:195], v[190:191], -v[194:195]
	v_fma_f64 v[2:3], v[2:3], 2.0, -v[26:27]
	v_fma_f64 v[184:185], v[184:185], 2.0, -v[38:39]
	v_fmac_f64_e32 v[210:211], s[14:15], v[176:177]
	v_fma_f64 v[176:177], v[6:7], 2.0, -v[208:209]
	v_add_f64 v[192:193], v[188:189], -v[192:193]
	v_fma_f64 v[6:7], v[190:191], 2.0, -v[194:195]
	v_fma_f64 v[190:191], s[2:3], v[186:187], v[10:11]
	v_fma_f64 v[178:179], v[0:1], 2.0, -v[210:211]
	v_fma_f64 v[214:215], s[14:15], v[30:31], v[170:171]
	;; [unrolled: 2-line block ×3, first 2 shown]
	v_fmac_f64_e32 v[190:191], s[14:15], v[184:185]
	v_add_f64 v[172:173], v[40:41], -v[172:173]
	v_add_f64 v[174:175], v[42:43], -v[174:175]
	;; [unrolled: 1-line block ×4, first 2 shown]
	v_fma_f64 v[216:217], s[14:15], v[28:29], v[168:169]
	v_fmac_f64_e32 v[214:215], s[2:3], v[28:29]
	v_fmac_f64_e32 v[188:189], s[2:3], v[186:187]
	v_fma_f64 v[28:29], v[10:11], 2.0, -v[190:191]
	v_fma_f64 v[42:43], v[42:43], 2.0, -v[174:175]
	;; [unrolled: 1-line block ×4, first 2 shown]
	v_add_f64 v[200:201], v[172:173], -v[200:201]
	v_add_f64 v[212:213], v[174:175], v[14:15]
	v_fma_f64 v[14:15], v[2:3], 2.0, -v[188:189]
	v_add_f64 v[222:223], v[202:203], -v[4:5]
	v_fma_f64 v[228:229], s[14:15], v[36:37], v[24:25]
	v_fma_f64 v[10:11], s[18:19], v[28:29], v[178:179]
	v_fma_f64 v[40:41], v[40:41], 2.0, -v[172:173]
	v_add_f64 v[182:183], v[42:43], -v[182:183]
	v_fma_f64 v[172:173], v[172:173], 2.0, -v[200:201]
	v_fmac_f64_e32 v[216:217], s[14:15], v[30:31]
	v_add_f64 v[224:225], v[12:13], v[8:9]
	v_fma_f64 v[30:31], v[202:203], 2.0, -v[222:223]
	v_fma_f64 v[226:227], s[14:15], v[38:39], v[26:27]
	v_fmac_f64_e32 v[228:229], s[14:15], v[38:39]
	v_fmac_f64_e32 v[10:11], s[20:21], v[14:15]
	v_fma_f64 v[174:175], v[174:175], 2.0, -v[212:213]
	v_fma_f64 v[220:221], v[168:169], 2.0, -v[216:217]
	;; [unrolled: 1-line block ×3, first 2 shown]
	v_fmac_f64_e32 v[226:227], s[2:3], v[36:37]
	v_fma_f64 v[38:39], v[24:25], 2.0, -v[228:229]
	v_fma_f64 v[8:9], s[18:19], v[14:15], v[176:177]
	v_fma_f64 v[14:15], v[178:179], 2.0, -v[10:11]
	v_fma_f64 v[24:25], s[2:3], v[30:31], v[172:173]
	v_add_f64 v[178:179], v[182:183], v[192:193]
	v_fma_f64 v[192:193], s[14:15], v[222:223], v[200:201]
	v_fma_f64 v[36:37], v[26:27], 2.0, -v[226:227]
	v_fma_f64 v[26:27], s[2:3], v[168:169], v[174:175]
	v_fmac_f64_e32 v[24:25], s[2:3], v[168:169]
	v_fmac_f64_e32 v[192:193], s[2:3], v[224:225]
	v_cmp_lt_u16_e64 s[2:3], 59, v18
	v_add_f64 v[180:181], v[40:41], -v[180:181]
	v_fma_f64 v[218:219], v[170:171], 2.0, -v[214:215]
	v_cndmask_b32_e64 v32, 0, v32, s[2:3]
	v_fmac_f64_e32 v[8:9], s[16:17], v[28:29]
	v_fma_f64 v[170:171], s[16:17], v[38:39], v[220:221]
	v_fma_f64 v[184:185], s[20:21], v[188:189], v[208:209]
	;; [unrolled: 1-line block ×3, first 2 shown]
	v_or_b32_e32 v22, v22, v32
	v_fma_f64 v[40:41], v[40:41], 2.0, -v[180:181]
	v_fma_f64 v[12:13], v[176:177], 2.0, -v[8:9]
	v_fma_f64 v[168:169], s[16:17], v[36:37], v[218:219]
	v_fmac_f64_e32 v[170:171], s[22:23], v[36:37]
	v_add_f64 v[176:177], v[180:181], -v[194:195]
	v_fmac_f64_e32 v[184:185], s[18:19], v[190:191]
	v_fmac_f64_e32 v[186:187], s[22:23], v[188:189]
	v_fma_f64 v[194:195], s[14:15], v[224:225], v[212:213]
	v_add_lshl_u32 v36, v230, v22, 4
	v_lshlrev_b32_e32 v22, 4, v18
	v_fma_f64 v[42:43], v[42:43], 2.0, -v[182:183]
	v_add_f64 v[0:1], v[40:41], -v[0:1]
	v_fmac_f64_e32 v[26:27], s[14:15], v[30:31]
	v_fmac_f64_e32 v[168:169], s[18:19], v[38:39]
	v_fma_f64 v[188:189], v[208:209], 2.0, -v[184:185]
	v_fma_f64 v[190:191], v[210:211], 2.0, -v[186:187]
	v_fmac_f64_e32 v[194:195], s[14:15], v[222:223]
	v_fma_f64 v[208:209], s[22:23], v[226:227], v[214:215]
	v_fma_f64 v[210:211], s[22:23], v[228:229], v[216:217]
	v_lshl_add_u64 v[38:39], s[8:9], 0, v[22:23]
	s_movk_i32 s15, 0x3000
	v_add_f64 v[2:3], v[42:43], -v[6:7]
	v_fma_f64 v[4:5], v[40:41], 2.0, -v[0:1]
	v_fmac_f64_e32 v[208:209], s[16:17], v[228:229]
	v_fmac_f64_e32 v[210:211], s[20:21], v[226:227]
	v_add_co_u32_e64 v40, s[2:3], s15, v38
	v_fma_f64 v[6:7], v[42:43], 2.0, -v[2:3]
	v_fma_f64 v[28:29], v[172:173], 2.0, -v[24:25]
	;; [unrolled: 1-line block ×7, first 2 shown]
	v_addc_co_u32_e64 v41, s[2:3], 0, v39, s[2:3]
	v_fma_f64 v[172:173], v[218:219], 2.0, -v[168:169]
	v_fma_f64 v[174:175], v[220:221], 2.0, -v[170:171]
	;; [unrolled: 1-line block ×4, first 2 shown]
	v_mov_b32_e32 v37, v230
	ds_write_b128 v36, v[4:7]
	ds_write_b128 v36, v[12:15] offset:960
	ds_write_b128 v36, v[28:31] offset:1920
	;; [unrolled: 1-line block ×15, first 2 shown]
	s_waitcnt lgkmcnt(0)
	s_barrier
	ds_read_b128 v[236:239], v44
	ds_read_b128 v[24:27], v21 offset:15360
	ds_read_b128 v[232:235], v21 offset:1920
	;; [unrolled: 1-line block ×15, first 2 shown]
	global_load_dwordx4 v[168:171], v[40:41], off offset:2912
	s_movk_i32 s14, 0x4000
	s_movk_i32 s9, 0x5000
	;; [unrolled: 1-line block ×3, first 2 shown]
	s_waitcnt vmcnt(0) lgkmcnt(14)
	v_mul_f64 v[40:41], v[26:27], v[170:171]
	v_fma_f64 v[246:247], v[24:25], v[168:169], -v[40:41]
	v_mul_f64 v[244:245], v[24:25], v[170:171]
	v_add_co_u32_e64 v24, s[2:3], s14, v38
	v_fmac_f64_e32 v[244:245], v[26:27], v[168:169]
	s_nop 0
	v_addc_co_u32_e64 v25, s[2:3], 0, v39, s[2:3]
	global_load_dwordx4 v[172:175], v[24:25], off offset:736
	global_load_dwordx4 v[176:179], v[24:25], off offset:2656
	s_waitcnt vmcnt(1) lgkmcnt(12)
	v_mul_f64 v[26:27], v[30:31], v[174:175]
	s_waitcnt vmcnt(0) lgkmcnt(10)
	v_mul_f64 v[24:25], v[14:15], v[178:179]
	v_fma_f64 v[252:253], v[12:13], v[176:177], -v[24:25]
	v_add_co_u32_e64 v24, s[2:3], s9, v38
	v_mul_f64 v[12:13], v[12:13], v[178:179]
	s_nop 0
	v_addc_co_u32_e64 v25, s[2:3], 0, v39, s[2:3]
	global_load_dwordx4 v[180:183], v[24:25], off offset:480
	global_load_dwordx4 v[184:187], v[24:25], off offset:2400
	v_add_co_u32_e64 v24, s[2:3], s8, v38
	v_fmac_f64_e32 v[12:13], v[14:15], v[176:177]
	s_nop 0
	v_addc_co_u32_e64 v25, s[2:3], 0, v39, s[2:3]
	global_load_dwordx4 v[188:191], v[24:25], off offset:224
	global_load_dwordx4 v[192:195], v[24:25], off offset:2144
	v_mul_f64 v[248:249], v[28:29], v[174:175]
	v_fma_f64 v[250:251], v[28:29], v[172:173], -v[26:27]
	v_fmac_f64_e32 v[248:249], v[30:31], v[172:173]
	v_add_f64 v[26:27], v[238:239], -v[244:245]
	v_fma_f64 v[30:31], v[238:239], 2.0, -v[26:27]
	v_add_f64 v[238:239], v[234:235], -v[248:249]
	v_fma_f64 v[234:235], v[234:235], 2.0, -v[238:239]
	s_movk_i32 s2, 0x2000
	s_waitcnt vmcnt(3) lgkmcnt(8)
	v_mul_f64 v[14:15], v[10:11], v[182:183]
	v_fma_f64 v[14:15], v[8:9], v[180:181], -v[14:15]
	v_mul_f64 v[8:9], v[8:9], v[182:183]
	v_fmac_f64_e32 v[8:9], v[10:11], v[180:181]
	s_waitcnt vmcnt(2) lgkmcnt(6)
	v_mul_f64 v[10:11], v[6:7], v[186:187]
	v_fma_f64 v[10:11], v[4:5], v[184:185], -v[10:11]
	v_mul_f64 v[4:5], v[4:5], v[186:187]
	v_fmac_f64_e32 v[4:5], v[6:7], v[184:185]
	;; [unrolled: 5-line block ×3, first 2 shown]
	s_waitcnt vmcnt(0) lgkmcnt(2)
	v_mul_f64 v[2:3], v[202:203], v[194:195]
	v_mul_f64 v[40:41], v[200:201], v[194:195]
	v_fma_f64 v[38:39], v[200:201], v[192:193], -v[2:3]
	v_fmac_f64_e32 v[40:41], v[202:203], v[192:193]
	global_load_dwordx4 v[200:203], v[24:25], off offset:4064
	v_add_f64 v[24:25], v[236:237], -v[246:247]
	v_fma_f64 v[28:29], v[236:237], 2.0, -v[24:25]
	v_add_f64 v[236:237], v[232:233], -v[250:251]
	v_add_f64 v[4:5], v[214:215], -v[4:5]
	v_fma_f64 v[232:233], v[232:233], 2.0, -v[236:237]
	s_waitcnt vmcnt(0) lgkmcnt(0)
	v_mul_f64 v[32:33], v[240:241], v[202:203]
	v_mul_f64 v[2:3], v[242:243], v[202:203]
	v_fmac_f64_e32 v[32:33], v[242:243], v[200:201]
	v_add_f64 v[242:243], v[226:227], -v[12:13]
	v_add_f64 v[12:13], v[216:217], -v[14:15]
	;; [unrolled: 1-line block ×3, first 2 shown]
	v_fma_f64 v[42:43], v[240:241], v[200:201], -v[2:3]
	v_add_f64 v[240:241], v[224:225], -v[252:253]
	v_fma_f64 v[248:249], v[216:217], 2.0, -v[12:13]
	v_fma_f64 v[250:251], v[218:219], 2.0, -v[14:15]
	v_add_f64 v[2:3], v[212:213], -v[10:11]
	v_add_f64 v[216:217], v[220:221], -v[38:39]
	;; [unrolled: 1-line block ×3, first 2 shown]
	v_fma_f64 v[244:245], v[224:225], 2.0, -v[240:241]
	v_fma_f64 v[246:247], v[226:227], 2.0, -v[242:243]
	;; [unrolled: 1-line block ×4, first 2 shown]
	v_add_f64 v[212:213], v[208:209], -v[6:7]
	v_add_f64 v[214:215], v[210:211], -v[0:1]
	v_fma_f64 v[224:225], v[220:221], 2.0, -v[216:217]
	v_fma_f64 v[226:227], v[222:223], 2.0, -v[218:219]
	v_add_f64 v[220:221], v[228:229], -v[42:43]
	v_add_f64 v[222:223], v[230:231], -v[32:33]
	v_fma_f64 v[208:209], v[208:209], 2.0, -v[212:213]
	v_fma_f64 v[210:211], v[210:211], 2.0, -v[214:215]
	;; [unrolled: 1-line block ×4, first 2 shown]
	ds_write_b128 v44, v[28:31]
	ds_write_b128 v21, v[24:27] offset:15360
	ds_write_b128 v21, v[232:235] offset:1920
	;; [unrolled: 1-line block ×15, first 2 shown]
	s_waitcnt lgkmcnt(0)
	s_barrier
	global_load_dwordx4 v[6:9], v22, s[12:13]
	ds_read_b128 v[0:3], v44
	v_lshl_add_u64 v[4:5], s[12:13], 0, v[22:23]
	s_waitcnt vmcnt(0) lgkmcnt(0)
	v_mul_f64 v[10:11], v[2:3], v[8:9]
	v_mul_f64 v[12:13], v[0:1], v[8:9]
	v_fma_f64 v[10:11], v[0:1], v[6:7], -v[10:11]
	v_fmac_f64_e32 v[12:13], v[2:3], v[6:7]
	global_load_dwordx4 v[6:9], v22, s[12:13] offset:3072
	ds_write_b128 v44, v[10:13]
	ds_read_b128 v[0:3], v21 offset:3072
	s_waitcnt vmcnt(0) lgkmcnt(0)
	v_mul_f64 v[10:11], v[2:3], v[8:9]
	v_mul_f64 v[12:13], v[0:1], v[8:9]
	v_fma_f64 v[10:11], v[0:1], v[6:7], -v[10:11]
	v_fmac_f64_e32 v[12:13], v[2:3], v[6:7]
	global_load_dwordx4 v[6:9], v255, s[12:13]
	ds_read_b128 v[0:3], v21 offset:6144
	ds_write_b128 v21, v[10:13] offset:3072
	s_waitcnt vmcnt(0) lgkmcnt(1)
	v_mul_f64 v[12:13], v[0:1], v[8:9]
	v_mul_f64 v[10:11], v[2:3], v[8:9]
	v_fmac_f64_e32 v[12:13], v[2:3], v[6:7]
	v_add_co_u32_e64 v2, s[2:3], s2, v4
	v_fma_f64 v[10:11], v[0:1], v[6:7], -v[10:11]
	s_nop 0
	v_addc_co_u32_e64 v3, s[2:3], 0, v5, s[2:3]
	ds_write_b128 v21, v[10:13] offset:6144
	global_load_dwordx4 v[10:13], v[2:3], off offset:1024
	ds_read_b128 v[6:9], v21 offset:9216
	s_waitcnt vmcnt(0) lgkmcnt(0)
	v_mul_f64 v[0:1], v[8:9], v[12:13]
	v_mul_f64 v[24:25], v[6:7], v[12:13]
	v_fma_f64 v[22:23], v[6:7], v[10:11], -v[0:1]
	v_fmac_f64_e32 v[24:25], v[8:9], v[10:11]
	global_load_dwordx4 v[10:13], v254, s[12:13]
	ds_read_b128 v[6:9], v21 offset:12288
	ds_write_b128 v21, v[22:25] offset:9216
	s_waitcnt vmcnt(0) lgkmcnt(1)
	v_mul_f64 v[0:1], v[8:9], v[12:13]
	v_fma_f64 v[22:23], v[6:7], v[10:11], -v[0:1]
	v_mul_f64 v[24:25], v[6:7], v[12:13]
	v_add_co_u32_e64 v6, s[2:3], s15, v4
	v_fmac_f64_e32 v[24:25], v[8:9], v[10:11]
	s_nop 0
	v_addc_co_u32_e64 v7, s[2:3], 0, v5, s[2:3]
	global_load_dwordx4 v[12:15], v[6:7], off offset:3072
	ds_read_b128 v[8:11], v21 offset:15360
	ds_write_b128 v21, v[22:25] offset:12288
	s_waitcnt vmcnt(0) lgkmcnt(1)
	v_mul_f64 v[0:1], v[10:11], v[14:15]
	v_fma_f64 v[22:23], v[8:9], v[12:13], -v[0:1]
	v_mul_f64 v[24:25], v[8:9], v[14:15]
	v_accvgpr_read_b32 v0, a60
	v_fmac_f64_e32 v[24:25], v[10:11], v[12:13]
	global_load_dwordx4 v[12:15], v0, s[12:13]
	ds_read_b128 v[8:11], v21 offset:18432
	ds_write_b128 v21, v[22:25] offset:15360
	s_waitcnt vmcnt(0) lgkmcnt(1)
	v_mul_f64 v[0:1], v[10:11], v[14:15]
	v_fma_f64 v[22:23], v[8:9], v[12:13], -v[0:1]
	v_add_co_u32_e64 v0, s[2:3], s9, v4
	v_mul_f64 v[24:25], v[8:9], v[14:15]
	s_nop 0
	v_addc_co_u32_e64 v1, s[2:3], 0, v5, s[2:3]
	v_fmac_f64_e32 v[24:25], v[10:11], v[12:13]
	global_load_dwordx4 v[12:15], v[0:1], off offset:1024
	ds_read_b128 v[8:11], v21 offset:21504
	ds_write_b128 v21, v[22:25] offset:18432
	s_waitcnt vmcnt(0) lgkmcnt(1)
	v_mul_f64 v[22:23], v[10:11], v[14:15]
	v_mul_f64 v[24:25], v[8:9], v[14:15]
	v_fma_f64 v[22:23], v[8:9], v[12:13], -v[22:23]
	v_fmac_f64_e32 v[24:25], v[10:11], v[12:13]
	v_accvgpr_read_b32 v12, a59
	global_load_dwordx4 v[12:15], v12, s[12:13]
	ds_read_b128 v[8:11], v21 offset:24576
	ds_write_b128 v21, v[22:25] offset:21504
	s_waitcnt vmcnt(0) lgkmcnt(1)
	v_mul_f64 v[22:23], v[10:11], v[14:15]
	v_fma_f64 v[22:23], v[8:9], v[12:13], -v[22:23]
	v_mul_f64 v[24:25], v[8:9], v[14:15]
	v_add_co_u32_e64 v8, s[2:3], s8, v4
	v_fmac_f64_e32 v[24:25], v[10:11], v[12:13]
	s_nop 0
	v_addc_co_u32_e64 v9, s[2:3], 0, v5, s[2:3]
	ds_write_b128 v21, v[22:25] offset:24576
	global_load_dwordx4 v[22:25], v[8:9], off offset:3072
	ds_read_b128 v[10:13], v21 offset:27648
	s_waitcnt vmcnt(0) lgkmcnt(0)
	v_mul_f64 v[14:15], v[12:13], v[24:25]
	v_mul_f64 v[28:29], v[10:11], v[24:25]
	v_fma_f64 v[26:27], v[10:11], v[22:23], -v[14:15]
	v_fmac_f64_e32 v[28:29], v[12:13], v[22:23]
	ds_write_b128 v21, v[26:29] offset:27648
	s_and_saveexec_b64 s[8:9], vcc
	s_cbranch_execz .LBB0_13
; %bb.12:
	global_load_dwordx4 v[22:25], v[4:5], off offset:1920
	ds_read_b128 v[10:13], v21 offset:1920
	s_movk_i32 s2, 0x1000
	s_waitcnt vmcnt(0) lgkmcnt(0)
	v_mul_f64 v[14:15], v[12:13], v[24:25]
	v_fma_f64 v[26:27], v[10:11], v[22:23], -v[14:15]
	v_add_co_u32_e64 v14, s[2:3], s2, v4
	v_mul_f64 v[28:29], v[10:11], v[24:25]
	s_nop 0
	v_addc_co_u32_e64 v15, s[2:3], 0, v5, s[2:3]
	v_fmac_f64_e32 v[28:29], v[12:13], v[22:23]
	global_load_dwordx4 v[22:25], v[14:15], off offset:896
	ds_read_b128 v[10:13], v21 offset:4992
	ds_write_b128 v21, v[26:29] offset:1920
	s_waitcnt vmcnt(0) lgkmcnt(1)
	v_mul_f64 v[26:27], v[12:13], v[24:25]
	v_mul_f64 v[28:29], v[10:11], v[24:25]
	v_fma_f64 v[26:27], v[10:11], v[22:23], -v[26:27]
	v_fmac_f64_e32 v[28:29], v[12:13], v[22:23]
	global_load_dwordx4 v[22:25], v[14:15], off offset:3968
	ds_read_b128 v[10:13], v21 offset:8064
	ds_write_b128 v21, v[26:29] offset:4992
	s_waitcnt vmcnt(0) lgkmcnt(1)
	v_mul_f64 v[14:15], v[12:13], v[24:25]
	v_mul_f64 v[28:29], v[10:11], v[24:25]
	v_fma_f64 v[26:27], v[10:11], v[22:23], -v[14:15]
	;; [unrolled: 8-line block ×3, first 2 shown]
	v_fmac_f64_e32 v[28:29], v[12:13], v[22:23]
	global_load_dwordx4 v[22:25], v[6:7], off offset:1920
	ds_read_b128 v[10:13], v21 offset:14208
	ds_write_b128 v21, v[26:29] offset:11136
	s_waitcnt vmcnt(0) lgkmcnt(1)
	v_mul_f64 v[2:3], v[12:13], v[24:25]
	v_fma_f64 v[26:27], v[10:11], v[22:23], -v[2:3]
	v_add_co_u32_e64 v2, s[2:3], s14, v4
	v_mul_f64 v[28:29], v[10:11], v[24:25]
	s_nop 0
	v_addc_co_u32_e64 v3, s[2:3], 0, v5, s[2:3]
	v_fmac_f64_e32 v[28:29], v[12:13], v[22:23]
	global_load_dwordx4 v[22:25], v[2:3], off offset:896
	ds_read_b128 v[10:13], v21 offset:17280
	ds_write_b128 v21, v[26:29] offset:14208
	s_movk_i32 s2, 0x7000
	v_add_co_u32_e64 v4, s[2:3], s2, v4
	s_waitcnt vmcnt(0) lgkmcnt(1)
	v_mul_f64 v[6:7], v[12:13], v[24:25]
	v_mul_f64 v[28:29], v[10:11], v[24:25]
	v_fma_f64 v[26:27], v[10:11], v[22:23], -v[6:7]
	v_fmac_f64_e32 v[28:29], v[12:13], v[22:23]
	global_load_dwordx4 v[22:25], v[2:3], off offset:3968
	ds_read_b128 v[10:13], v21 offset:20352
	ds_write_b128 v21, v[26:29] offset:17280
	v_addc_co_u32_e64 v5, s[2:3], 0, v5, s[2:3]
	s_waitcnt vmcnt(0) lgkmcnt(1)
	v_mul_f64 v[2:3], v[12:13], v[24:25]
	v_fma_f64 v[26:27], v[10:11], v[22:23], -v[2:3]
	global_load_dwordx4 v[0:3], v[0:1], off offset:2944
	v_mul_f64 v[28:29], v[10:11], v[24:25]
	v_fmac_f64_e32 v[28:29], v[12:13], v[22:23]
	ds_read_b128 v[10:13], v21 offset:23424
	ds_write_b128 v21, v[26:29] offset:20352
	s_waitcnt vmcnt(0) lgkmcnt(1)
	v_mul_f64 v[6:7], v[12:13], v[2:3]
	v_fma_f64 v[22:23], v[10:11], v[0:1], -v[6:7]
	global_load_dwordx4 v[6:9], v[8:9], off offset:1920
	v_mul_f64 v[24:25], v[10:11], v[2:3]
	v_fmac_f64_e32 v[24:25], v[12:13], v[0:1]
	ds_read_b128 v[0:3], v21 offset:26496
	ds_write_b128 v21, v[22:25] offset:23424
	s_waitcnt vmcnt(0) lgkmcnt(1)
	v_mul_f64 v[10:11], v[2:3], v[8:9]
	v_mul_f64 v[12:13], v[0:1], v[8:9]
	v_fma_f64 v[10:11], v[0:1], v[6:7], -v[10:11]
	v_fmac_f64_e32 v[12:13], v[2:3], v[6:7]
	global_load_dwordx4 v[4:7], v[4:5], off offset:896
	ds_read_b128 v[0:3], v21 offset:29568
	ds_write_b128 v21, v[10:13] offset:26496
	s_waitcnt vmcnt(0) lgkmcnt(1)
	v_mul_f64 v[8:9], v[2:3], v[6:7]
	v_mul_f64 v[10:11], v[0:1], v[6:7]
	v_fma_f64 v[8:9], v[0:1], v[4:5], -v[8:9]
	v_fmac_f64_e32 v[10:11], v[2:3], v[4:5]
	ds_write_b128 v21, v[8:11] offset:29568
.LBB0_13:
	s_or_b64 exec, exec, s[8:9]
	v_accvgpr_read_b32 v0, a44
	s_waitcnt lgkmcnt(0)
	s_barrier
	ds_read_b128 v[232:235], v0
	ds_read_b128 v[236:239], v21 offset:3072
	ds_read_b128 v[0:3], v21 offset:6144
	;; [unrolled: 1-line block ×9, first 2 shown]
	s_and_saveexec_b64 s[2:3], vcc
	s_cbranch_execz .LBB0_15
; %bb.14:
	v_mov_b32_e32 v22, v37
	v_lshlrev_b32_e32 v22, 4, v22
	v_lshl_add_u32 v22, v18, 4, v22
	ds_read_b128 v[212:215], v22 offset:4992
	ds_read_b128 v[224:227], v22 offset:8064
	;; [unrolled: 1-line block ×10, first 2 shown]
.LBB0_15:
	s_or_b64 exec, exec, s[2:3]
	s_waitcnt lgkmcnt(3)
	v_add_f64 v[24:25], v[4:5], v[8:9]
	s_mov_b32 s2, 0x134454ff
	v_fma_f64 v[24:25], -0.5, v[24:25], v[232:233]
	s_waitcnt lgkmcnt(1)
	v_add_f64 v[26:27], v[2:3], -v[14:15]
	s_mov_b32 s3, 0xbfee6f0e
	s_mov_b32 s8, 0x4755a5e
	;; [unrolled: 1-line block ×4, first 2 shown]
	v_fma_f64 v[28:29], s[2:3], v[26:27], v[24:25]
	v_add_f64 v[30:31], v[6:7], -v[10:11]
	s_mov_b32 s9, 0xbfe2cf23
	v_add_f64 v[32:33], v[0:1], -v[4:5]
	v_add_f64 v[38:39], v[12:13], -v[8:9]
	s_mov_b32 s12, 0x372fe950
	v_fmac_f64_e32 v[24:25], s[14:15], v[26:27]
	s_mov_b32 s17, 0x3fe2cf23
	s_mov_b32 s16, s8
	v_fmac_f64_e32 v[28:29], s[8:9], v[30:31]
	v_add_f64 v[32:33], v[32:33], v[38:39]
	s_mov_b32 s13, 0x3fd3c6ef
	v_fmac_f64_e32 v[24:25], s[16:17], v[30:31]
	v_fmac_f64_e32 v[28:29], s[12:13], v[32:33]
	;; [unrolled: 1-line block ×3, first 2 shown]
	v_add_f64 v[32:33], v[0:1], v[12:13]
	v_add_f64 v[22:23], v[232:233], v[0:1]
	v_fmac_f64_e32 v[232:233], -0.5, v[32:33]
	v_add_f64 v[22:23], v[22:23], v[4:5]
	v_fma_f64 v[32:33], s[14:15], v[30:31], v[232:233]
	v_fmac_f64_e32 v[232:233], s[2:3], v[30:31]
	v_add_f64 v[30:31], v[6:7], v[10:11]
	v_add_f64 v[22:23], v[22:23], v[8:9]
	v_add_f64 v[38:39], v[4:5], -v[0:1]
	v_fma_f64 v[30:31], -0.5, v[30:31], v[234:235]
	v_add_f64 v[0:1], v[0:1], -v[12:13]
	v_add_f64 v[22:23], v[22:23], v[12:13]
	v_add_f64 v[40:41], v[8:9], -v[12:13]
	v_fma_f64 v[42:43], s[14:15], v[0:1], v[30:31]
	v_add_f64 v[4:5], v[4:5], -v[8:9]
	v_add_f64 v[8:9], v[2:3], -v[6:7]
	;; [unrolled: 1-line block ×3, first 2 shown]
	v_fmac_f64_e32 v[30:31], s[2:3], v[0:1]
	v_fmac_f64_e32 v[42:43], s[16:17], v[4:5]
	v_add_f64 v[8:9], v[8:9], v[12:13]
	v_fmac_f64_e32 v[30:31], s[8:9], v[4:5]
	v_fmac_f64_e32 v[42:43], s[12:13], v[8:9]
	;; [unrolled: 1-line block ×3, first 2 shown]
	v_add_f64 v[8:9], v[2:3], v[14:15]
	v_fmac_f64_e32 v[32:33], s[8:9], v[26:27]
	v_fmac_f64_e32 v[232:233], s[16:17], v[26:27]
	v_add_f64 v[26:27], v[234:235], v[2:3]
	v_fmac_f64_e32 v[234:235], -0.5, v[8:9]
	v_fma_f64 v[44:45], s[2:3], v[4:5], v[234:235]
	v_fmac_f64_e32 v[234:235], s[14:15], v[4:5]
	v_fmac_f64_e32 v[44:45], s[16:17], v[0:1]
	;; [unrolled: 1-line block ×3, first 2 shown]
	v_add_f64 v[0:1], v[236:237], v[240:241]
	v_add_f64 v[0:1], v[0:1], v[244:245]
	;; [unrolled: 1-line block ×4, first 2 shown]
	v_fmac_f64_e32 v[32:33], s[12:13], v[38:39]
	v_fmac_f64_e32 v[232:233], s[12:13], v[38:39]
	v_add_f64 v[26:27], v[26:27], v[6:7]
	v_add_f64 v[2:3], v[6:7], -v[2:3]
	v_add_f64 v[6:7], v[10:11], -v[14:15]
	s_waitcnt lgkmcnt(0)
	v_add_f64 v[38:39], v[0:1], v[252:253]
	v_add_f64 v[0:1], v[244:245], v[248:249]
	;; [unrolled: 1-line block ×3, first 2 shown]
	v_fma_f64 v[40:41], -0.5, v[0:1], v[236:237]
	v_add_f64 v[0:1], v[242:243], -v[254:255]
	v_fmac_f64_e32 v[44:45], s[12:13], v[2:3]
	v_fmac_f64_e32 v[234:235], s[12:13], v[2:3]
	v_fma_f64 v[6:7], s[2:3], v[0:1], v[40:41]
	v_add_f64 v[2:3], v[246:247], -v[250:251]
	v_add_f64 v[4:5], v[240:241], -v[244:245]
	v_add_f64 v[8:9], v[252:253], -v[248:249]
	v_fmac_f64_e32 v[40:41], s[14:15], v[0:1]
	v_fmac_f64_e32 v[6:7], s[8:9], v[2:3]
	v_add_f64 v[4:5], v[4:5], v[8:9]
	v_fmac_f64_e32 v[40:41], s[16:17], v[2:3]
	v_fmac_f64_e32 v[6:7], s[12:13], v[4:5]
	;; [unrolled: 1-line block ×3, first 2 shown]
	v_add_f64 v[4:5], v[240:241], v[252:253]
	v_fmac_f64_e32 v[236:237], -0.5, v[4:5]
	v_add_f64 v[26:27], v[26:27], v[10:11]
	v_fma_f64 v[10:11], s[14:15], v[2:3], v[236:237]
	v_fmac_f64_e32 v[236:237], s[2:3], v[2:3]
	v_fmac_f64_e32 v[10:11], s[8:9], v[0:1]
	;; [unrolled: 1-line block ×3, first 2 shown]
	v_add_f64 v[0:1], v[238:239], v[242:243]
	v_add_f64 v[0:1], v[0:1], v[246:247]
	;; [unrolled: 1-line block ×3, first 2 shown]
	v_add_f64 v[4:5], v[244:245], -v[240:241]
	v_add_f64 v[8:9], v[248:249], -v[252:253]
	v_add_f64 v[46:47], v[0:1], v[254:255]
	v_add_f64 v[0:1], v[246:247], v[250:251]
	;; [unrolled: 1-line block ×3, first 2 shown]
	v_fma_f64 v[48:49], -0.5, v[0:1], v[238:239]
	v_add_f64 v[0:1], v[240:241], -v[252:253]
	v_add_f64 v[26:27], v[26:27], v[14:15]
	v_fmac_f64_e32 v[10:11], s[12:13], v[4:5]
	v_fmac_f64_e32 v[236:237], s[12:13], v[4:5]
	v_fma_f64 v[14:15], s[14:15], v[0:1], v[48:49]
	v_add_f64 v[2:3], v[244:245], -v[248:249]
	v_add_f64 v[4:5], v[242:243], -v[246:247]
	;; [unrolled: 1-line block ×3, first 2 shown]
	v_fmac_f64_e32 v[48:49], s[2:3], v[0:1]
	v_fmac_f64_e32 v[14:15], s[16:17], v[2:3]
	v_add_f64 v[4:5], v[4:5], v[8:9]
	v_fmac_f64_e32 v[48:49], s[8:9], v[2:3]
	v_fmac_f64_e32 v[14:15], s[12:13], v[4:5]
	;; [unrolled: 1-line block ×3, first 2 shown]
	v_add_f64 v[4:5], v[242:243], v[254:255]
	v_fmac_f64_e32 v[238:239], -0.5, v[4:5]
	v_fma_f64 v[50:51], s[2:3], v[2:3], v[238:239]
	v_add_f64 v[4:5], v[246:247], -v[242:243]
	v_add_f64 v[8:9], v[250:251], -v[254:255]
	v_fmac_f64_e32 v[238:239], s[14:15], v[2:3]
	v_add_f64 v[4:5], v[4:5], v[8:9]
	v_fmac_f64_e32 v[238:239], s[8:9], v[0:1]
	v_fmac_f64_e32 v[238:239], s[12:13], v[4:5]
	s_mov_b32 s18, 0x9b97f4a8
	s_mov_b32 s19, 0x3fe9e377
	v_mul_f64 v[250:251], v[238:239], s[2:3]
	s_mov_b32 s21, 0xbfd3c6ef
	s_mov_b32 s20, s12
	v_mul_f64 v[252:253], v[48:49], s[8:9]
	s_mov_b32 s23, 0xbfe9e377
	s_mov_b32 s22, s18
	v_fmac_f64_e32 v[250:251], s[20:21], v[236:237]
	v_fmac_f64_e32 v[252:253], s[22:23], v[40:41]
	v_mul_f64 v[254:255], v[6:7], s[16:17]
	v_mul_f64 v[238:239], v[238:239], s[20:21]
	;; [unrolled: 1-line block ×3, first 2 shown]
	v_add_f64 v[12:13], v[232:233], v[250:251]
	v_add_f64 v[240:241], v[24:25], v[252:253]
	v_fmac_f64_e32 v[254:255], s[18:19], v[14:15]
	v_fmac_f64_e32 v[238:239], s[14:15], v[236:237]
	v_mul_f64 v[48:49], v[48:49], s[22:23]
	v_add_f64 v[236:237], v[232:233], -v[250:251]
	v_add_f64 v[232:233], v[24:25], -v[252:253]
	v_add_f64 v[24:25], v[204:205], v[228:229]
	v_fmac_f64_e32 v[50:51], s[16:17], v[0:1]
	v_fmac_f64_e32 v[244:245], s[18:19], v[6:7]
	v_add_f64 v[6:7], v[42:43], v[254:255]
	v_fmac_f64_e32 v[48:49], s[16:17], v[40:41]
	v_add_f64 v[250:251], v[42:43], -v[254:255]
	v_fma_f64 v[254:255], -0.5, v[24:25], v[208:209]
	v_add_f64 v[24:25], v[226:227], -v[106:107]
	v_fmac_f64_e32 v[50:51], s[12:13], v[4:5]
	v_add_f64 v[4:5], v[28:29], v[244:245]
	v_add_f64 v[2:3], v[26:27], v[46:47]
	;; [unrolled: 1-line block ×4, first 2 shown]
	v_add_f64 v[248:249], v[28:29], -v[244:245]
	v_add_f64 v[40:41], v[26:27], -v[46:47]
	;; [unrolled: 1-line block ×4, first 2 shown]
	v_fma_f64 v[252:253], s[2:3], v[24:25], v[254:255]
	v_add_f64 v[26:27], v[230:231], -v[206:207]
	v_add_f64 v[28:29], v[224:225], -v[228:229]
	;; [unrolled: 1-line block ×3, first 2 shown]
	v_fmac_f64_e32 v[254:255], s[14:15], v[24:25]
	v_fmac_f64_e32 v[252:253], s[8:9], v[26:27]
	v_add_f64 v[28:29], v[30:31], v[28:29]
	v_fmac_f64_e32 v[254:255], s[16:17], v[26:27]
	v_fmac_f64_e32 v[252:253], s[12:13], v[28:29]
	;; [unrolled: 1-line block ×3, first 2 shown]
	v_add_f64 v[28:29], v[104:105], v[224:225]
	v_add_f64 v[0:1], v[22:23], v[38:39]
	v_add_f64 v[38:39], v[22:23], -v[38:39]
	v_add_f64 v[22:23], v[224:225], v[208:209]
	v_fmac_f64_e32 v[208:209], -0.5, v[28:29]
	v_fma_f64 v[42:43], s[14:15], v[26:27], v[208:209]
	v_add_f64 v[28:29], v[228:229], -v[224:225]
	v_add_f64 v[30:31], v[204:205], -v[104:105]
	v_fmac_f64_e32 v[208:209], s[2:3], v[26:27]
	v_mul_f64 v[246:247], v[50:51], s[2:3]
	v_mul_f64 v[50:51], v[50:51], s[12:13]
	v_fmac_f64_e32 v[42:43], s[8:9], v[24:25]
	v_add_f64 v[28:29], v[30:31], v[28:29]
	v_fmac_f64_e32 v[208:209], s[16:17], v[24:25]
	v_add_f64 v[26:27], v[206:207], v[230:231]
	v_fmac_f64_e32 v[246:247], s[12:13], v[10:11]
	v_fmac_f64_e32 v[50:51], s[14:15], v[10:11]
	;; [unrolled: 1-line block ×4, first 2 shown]
	v_fma_f64 v[28:29], -0.5, v[26:27], v[210:211]
	v_add_f64 v[30:31], v[224:225], -v[104:105]
	v_add_f64 v[8:9], v[32:33], v[246:247]
	v_add_f64 v[10:11], v[44:45], v[50:51]
	v_add_f64 v[244:245], v[32:33], -v[246:247]
	v_add_f64 v[246:247], v[44:45], -v[50:51]
	v_fma_f64 v[26:27], s[14:15], v[30:31], v[28:29]
	v_add_f64 v[32:33], v[228:229], -v[204:205]
	v_add_f64 v[44:45], v[226:227], -v[230:231]
	;; [unrolled: 1-line block ×3, first 2 shown]
	v_fmac_f64_e32 v[28:29], s[2:3], v[30:31]
	v_fmac_f64_e32 v[26:27], s[16:17], v[32:33]
	v_add_f64 v[44:45], v[46:47], v[44:45]
	v_fmac_f64_e32 v[28:29], s[8:9], v[32:33]
	v_fmac_f64_e32 v[26:27], s[12:13], v[44:45]
	;; [unrolled: 1-line block ×3, first 2 shown]
	v_add_f64 v[44:45], v[106:107], v[226:227]
	v_add_f64 v[24:25], v[226:227], v[210:211]
	v_fmac_f64_e32 v[210:211], -0.5, v[44:45]
	v_fma_f64 v[44:45], s[2:3], v[32:33], v[210:211]
	v_add_f64 v[46:47], v[230:231], -v[226:227]
	v_add_f64 v[48:49], v[206:207], -v[106:107]
	v_fmac_f64_e32 v[210:211], s[14:15], v[32:33]
	v_add_f64 v[22:23], v[228:229], v[22:23]
	v_add_f64 v[24:25], v[230:231], v[24:25]
	v_fmac_f64_e32 v[44:45], s[16:17], v[30:31]
	v_add_f64 v[46:47], v[48:49], v[46:47]
	v_fmac_f64_e32 v[210:211], s[8:9], v[30:31]
	v_add_f64 v[32:33], v[220:221], v[196:197]
	v_add_f64 v[22:23], v[204:205], v[22:23]
	;; [unrolled: 1-line block ×3, first 2 shown]
	v_fmac_f64_e32 v[44:45], s[12:13], v[46:47]
	v_fmac_f64_e32 v[210:211], s[12:13], v[46:47]
	v_fma_f64 v[46:47], -0.5, v[32:33], v[212:213]
	v_add_f64 v[32:33], v[218:219], -v[102:103]
	v_add_f64 v[22:23], v[104:105], v[22:23]
	v_add_f64 v[24:25], v[106:107], v[24:25]
	v_fma_f64 v[48:49], s[2:3], v[32:33], v[46:47]
	v_add_f64 v[50:51], v[222:223], -v[198:199]
	v_add_f64 v[104:105], v[216:217], -v[220:221]
	;; [unrolled: 1-line block ×3, first 2 shown]
	v_fmac_f64_e32 v[46:47], s[14:15], v[32:33]
	v_fmac_f64_e32 v[48:49], s[8:9], v[50:51]
	v_add_f64 v[104:105], v[106:107], v[104:105]
	v_fmac_f64_e32 v[46:47], s[16:17], v[50:51]
	v_fmac_f64_e32 v[48:49], s[12:13], v[104:105]
	;; [unrolled: 1-line block ×3, first 2 shown]
	v_add_f64 v[104:105], v[100:101], v[216:217]
	v_add_f64 v[30:31], v[216:217], v[212:213]
	v_fmac_f64_e32 v[212:213], -0.5, v[104:105]
	v_fma_f64 v[106:107], s[14:15], v[50:51], v[212:213]
	v_fmac_f64_e32 v[212:213], s[2:3], v[50:51]
	v_fmac_f64_e32 v[106:107], s[8:9], v[32:33]
	;; [unrolled: 1-line block ×3, first 2 shown]
	v_add_f64 v[32:33], v[218:219], v[214:215]
	v_add_f64 v[32:33], v[222:223], v[32:33]
	;; [unrolled: 1-line block ×4, first 2 shown]
	v_add_f64 v[104:105], v[220:221], -v[216:217]
	v_add_f64 v[204:205], v[196:197], -v[100:101]
	v_add_f64 v[224:225], v[102:103], v[32:33]
	v_add_f64 v[32:33], v[222:223], v[198:199]
	;; [unrolled: 1-line block ×4, first 2 shown]
	v_fma_f64 v[32:33], -0.5, v[32:33], v[214:215]
	v_add_f64 v[50:51], v[216:217], -v[100:101]
	v_add_f64 v[30:31], v[100:101], v[30:31]
	v_fmac_f64_e32 v[106:107], s[12:13], v[104:105]
	v_fmac_f64_e32 v[212:213], s[12:13], v[104:105]
	v_fma_f64 v[204:205], s[14:15], v[50:51], v[32:33]
	v_add_f64 v[100:101], v[220:221], -v[196:197]
	v_add_f64 v[104:105], v[218:219], -v[222:223]
	;; [unrolled: 1-line block ×3, first 2 shown]
	v_fmac_f64_e32 v[32:33], s[2:3], v[50:51]
	v_fmac_f64_e32 v[204:205], s[16:17], v[100:101]
	v_add_f64 v[104:105], v[196:197], v[104:105]
	v_fmac_f64_e32 v[32:33], s[8:9], v[100:101]
	v_fmac_f64_e32 v[204:205], s[12:13], v[104:105]
	;; [unrolled: 1-line block ×3, first 2 shown]
	v_add_f64 v[104:105], v[102:103], v[218:219]
	v_fmac_f64_e32 v[214:215], -0.5, v[104:105]
	v_fma_f64 v[206:207], s[2:3], v[100:101], v[214:215]
	v_add_f64 v[104:105], v[222:223], -v[218:219]
	v_add_f64 v[102:103], v[198:199], -v[102:103]
	v_fmac_f64_e32 v[214:215], s[14:15], v[100:101]
	v_fmac_f64_e32 v[206:207], s[16:17], v[50:51]
	v_add_f64 v[102:103], v[102:103], v[104:105]
	v_fmac_f64_e32 v[214:215], s[8:9], v[50:51]
	v_fmac_f64_e32 v[206:207], s[12:13], v[102:103]
	;; [unrolled: 1-line block ×3, first 2 shown]
	v_mul_f64 v[220:221], v[204:205], s[8:9]
	v_mul_f64 v[226:227], v[204:205], s[18:19]
	v_fmac_f64_e32 v[220:221], s[18:19], v[48:49]
	v_mul_f64 v[50:51], v[206:207], s[2:3]
	v_mul_f64 v[222:223], v[214:215], s[2:3]
	;; [unrolled: 1-line block ×3, first 2 shown]
	v_fmac_f64_e32 v[226:227], s[16:17], v[48:49]
	v_mul_f64 v[48:49], v[206:207], s[12:13]
	v_mul_f64 v[230:231], v[214:215], s[20:21]
	;; [unrolled: 1-line block ×3, first 2 shown]
	v_fmac_f64_e32 v[50:51], s[12:13], v[106:107]
	v_fmac_f64_e32 v[222:223], s[20:21], v[212:213]
	;; [unrolled: 1-line block ×6, first 2 shown]
	v_add_f64 v[100:101], v[42:43], v[50:51]
	v_add_f64 v[104:105], v[208:209], v[222:223]
	v_add_f64 v[196:197], v[254:255], v[228:229]
	v_add_f64 v[102:103], v[44:45], v[48:49]
	v_add_f64 v[106:107], v[210:211], v[230:231]
	v_add_f64 v[198:199], v[28:29], v[32:33]
	v_add_f64 v[204:205], v[22:23], -v[30:31]
	v_add_f64 v[216:217], v[252:253], -v[220:221]
	;; [unrolled: 1-line block ×6, first 2 shown]
	s_barrier
	ds_write_b128 v19, v[0:3]
	ds_write_b128 v19, v[4:7] offset:16
	ds_write_b128 v19, v[8:11] offset:32
	;; [unrolled: 1-line block ×9, first 2 shown]
	s_and_saveexec_b64 s[2:3], vcc
	s_cbranch_execz .LBB0_17
; %bb.16:
	v_add_f64 v[12:13], v[30:31], v[22:23]
	v_mov_b32_e32 v19, v37
	v_accvgpr_read_b32 v22, a45
	v_add_f64 v[14:15], v[224:225], v[24:25]
	v_add_lshl_u32 v19, v19, v22, 4
	v_add_f64 v[2:3], v[28:29], -v[32:33]
	v_add_f64 v[6:7], v[210:211], -v[230:231]
	;; [unrolled: 1-line block ×4, first 2 shown]
	v_add_f64 v[10:11], v[26:27], v[226:227]
	v_add_f64 v[8:9], v[252:253], v[220:221]
	ds_write_b128 v19, v[12:15]
	ds_write_b128 v19, v[8:11] offset:16
	ds_write_b128 v19, v[100:103] offset:32
	;; [unrolled: 1-line block ×9, first 2 shown]
.LBB0_17:
	s_or_b64 exec, exec, s[2:3]
	v_accvgpr_read_b32 v0, a44
	s_waitcnt lgkmcnt(0)
	s_barrier
	ds_read_b128 v[220:223], v0
	ds_read_b128 v[208:211], v21 offset:1920
	ds_read_b128 v[244:247], v21 offset:5120
	;; [unrolled: 1-line block ×11, first 2 shown]
	s_and_saveexec_b64 s[2:3], s[0:1]
	s_cbranch_execz .LBB0_19
; %bb.18:
	ds_read_b128 v[100:103], v21 offset:3840
	ds_read_b128 v[104:107], v21 offset:8960
	;; [unrolled: 1-line block ×6, first 2 shown]
.LBB0_19:
	s_or_b64 exec, exec, s[2:3]
	s_waitcnt lgkmcnt(9)
	v_mul_f64 v[24:25], v[74:75], v[246:247]
	v_mul_f64 v[26:27], v[74:75], v[244:245]
	v_fmac_f64_e32 v[24:25], v[72:73], v[244:245]
	v_fma_f64 v[26:27], v[72:73], v[246:247], -v[26:27]
	s_waitcnt lgkmcnt(7)
	v_mul_f64 v[28:29], v[70:71], v[242:243]
	s_waitcnt lgkmcnt(3)
	v_mul_f64 v[40:41], v[62:63], v[234:235]
	v_mul_f64 v[42:43], v[62:63], v[232:233]
	s_waitcnt lgkmcnt(0)
	v_mul_f64 v[72:73], v[98:99], v[2:3]
	v_fmac_f64_e32 v[28:29], v[68:69], v[240:241]
	v_fmac_f64_e32 v[40:41], v[60:61], v[232:233]
	v_fma_f64 v[42:43], v[60:61], v[234:235], -v[42:43]
	v_mul_f64 v[60:61], v[86:87], v[14:15]
	v_fmac_f64_e32 v[72:73], v[96:97], v[0:1]
	v_mul_f64 v[0:1], v[98:99], v[0:1]
	v_mul_f64 v[30:31], v[70:71], v[240:241]
	v_fmac_f64_e32 v[60:61], v[84:85], v[12:13]
	v_mul_f64 v[12:13], v[86:87], v[12:13]
	v_fma_f64 v[74:75], v[96:97], v[2:3], -v[0:1]
	v_add_f64 v[0:1], v[220:221], v[28:29]
	v_fma_f64 v[30:31], v[68:69], v[242:243], -v[30:31]
	v_mul_f64 v[32:33], v[66:67], v[238:239]
	v_mul_f64 v[38:39], v[66:67], v[236:237]
	v_fma_f64 v[62:63], v[84:85], v[14:15], -v[12:13]
	v_add_f64 v[12:13], v[0:1], v[40:41]
	v_add_f64 v[0:1], v[28:29], v[40:41]
	s_mov_b32 s2, 0xe8584caa
	v_fmac_f64_e32 v[32:33], v[64:65], v[236:237]
	v_fma_f64 v[38:39], v[64:65], v[238:239], -v[38:39]
	v_mul_f64 v[64:65], v[78:79], v[10:11]
	v_fmac_f64_e32 v[220:221], -0.5, v[0:1]
	v_add_f64 v[0:1], v[30:31], -v[42:43]
	s_mov_b32 s3, 0xbfebb67a
	s_mov_b32 s9, 0x3febb67a
	;; [unrolled: 1-line block ×3, first 2 shown]
	v_fmac_f64_e32 v[64:65], v[76:77], v[8:9]
	v_mul_f64 v[8:9], v[78:79], v[8:9]
	v_fma_f64 v[14:15], s[2:3], v[0:1], v[220:221]
	v_fmac_f64_e32 v[220:221], s[8:9], v[0:1]
	v_add_f64 v[0:1], v[222:223], v[30:31]
	v_fma_f64 v[66:67], v[76:77], v[10:11], -v[8:9]
	v_add_f64 v[76:77], v[0:1], v[42:43]
	v_add_f64 v[0:1], v[30:31], v[42:43]
	v_mul_f64 v[44:45], v[90:91], v[230:231]
	v_fmac_f64_e32 v[222:223], -0.5, v[0:1]
	v_add_f64 v[0:1], v[28:29], -v[40:41]
	v_fmac_f64_e32 v[44:45], v[88:89], v[228:229]
	v_mul_f64 v[46:47], v[90:91], v[228:229]
	v_fma_f64 v[30:31], s[8:9], v[0:1], v[222:223]
	v_fmac_f64_e32 v[222:223], s[2:3], v[0:1]
	v_add_f64 v[0:1], v[24:25], v[32:33]
	v_fma_f64 v[46:47], v[88:89], v[230:231], -v[46:47]
	v_mul_f64 v[68:69], v[82:83], v[6:7]
	v_add_f64 v[28:29], v[0:1], v[44:45]
	v_add_f64 v[0:1], v[32:33], v[44:45]
	v_fmac_f64_e32 v[68:69], v[80:81], v[4:5]
	v_mul_f64 v[4:5], v[82:83], v[4:5]
	v_fmac_f64_e32 v[24:25], -0.5, v[0:1]
	v_add_f64 v[0:1], v[38:39], -v[46:47]
	v_fma_f64 v[70:71], v[80:81], v[6:7], -v[4:5]
	v_fma_f64 v[6:7], s[2:3], v[0:1], v[24:25]
	v_fmac_f64_e32 v[24:25], s[8:9], v[0:1]
	v_add_f64 v[0:1], v[26:27], v[38:39]
	v_add_f64 v[40:41], v[0:1], v[46:47]
	v_add_f64 v[0:1], v[38:39], v[46:47]
	v_fmac_f64_e32 v[26:27], -0.5, v[0:1]
	v_add_f64 v[0:1], v[32:33], -v[44:45]
	v_fma_f64 v[10:11], s[8:9], v[0:1], v[26:27]
	v_fmac_f64_e32 v[26:27], s[2:3], v[0:1]
	v_mul_f64 v[38:39], v[26:27], s[2:3]
	v_mul_f64 v[32:33], v[10:11], s[2:3]
	v_fmac_f64_e32 v[38:39], -0.5, v[24:25]
	v_add_f64 v[0:1], v[12:13], v[28:29]
	v_fmac_f64_e32 v[32:33], 0.5, v[6:7]
	v_add_f64 v[8:9], v[220:221], v[38:39]
	v_mul_f64 v[42:43], v[10:11], 0.5
	v_mul_f64 v[44:45], v[26:27], -0.5
	v_add_f64 v[12:13], v[12:13], -v[28:29]
	v_add_f64 v[28:29], v[220:221], -v[38:39]
	v_add_f64 v[38:39], v[60:61], v[68:69]
	v_add_f64 v[4:5], v[14:15], v[32:33]
	v_fmac_f64_e32 v[42:43], s[8:9], v[6:7]
	v_fmac_f64_e32 v[44:45], s[8:9], v[24:25]
	v_add_f64 v[24:25], v[14:15], -v[32:33]
	v_add_f64 v[32:33], v[208:209], v[60:61]
	v_fmac_f64_e32 v[208:209], -0.5, v[38:39]
	v_add_f64 v[38:39], v[62:63], -v[70:71]
	v_add_f64 v[6:7], v[30:31], v[42:43]
	v_add_f64 v[26:27], v[30:31], -v[42:43]
	v_fma_f64 v[42:43], s[2:3], v[38:39], v[208:209]
	v_fmac_f64_e32 v[208:209], s[8:9], v[38:39]
	v_add_f64 v[38:39], v[210:211], v[62:63]
	v_mul_f64 v[48:49], v[94:95], v[226:227]
	v_add_f64 v[10:11], v[222:223], v[44:45]
	v_add_f64 v[30:31], v[222:223], -v[44:45]
	v_add_f64 v[44:45], v[38:39], v[70:71]
	v_add_f64 v[38:39], v[62:63], v[70:71]
	v_fmac_f64_e32 v[48:49], v[92:93], v[224:225]
	v_fmac_f64_e32 v[210:211], -0.5, v[38:39]
	v_add_f64 v[38:39], v[60:61], -v[68:69]
	v_fma_f64 v[46:47], s[8:9], v[38:39], v[210:211]
	v_fmac_f64_e32 v[210:211], s[2:3], v[38:39]
	v_add_f64 v[38:39], v[48:49], v[64:65]
	v_mul_f64 v[50:51], v[94:95], v[224:225]
	v_add_f64 v[32:33], v[32:33], v[68:69]
	v_add_f64 v[68:69], v[38:39], v[72:73]
	;; [unrolled: 1-line block ×3, first 2 shown]
	v_fma_f64 v[50:51], v[92:93], v[226:227], -v[50:51]
	v_fmac_f64_e32 v[48:49], -0.5, v[38:39]
	v_add_f64 v[38:39], v[66:67], -v[74:75]
	v_fma_f64 v[62:63], s[2:3], v[38:39], v[48:49]
	v_fmac_f64_e32 v[48:49], s[8:9], v[38:39]
	v_add_f64 v[38:39], v[50:51], v[66:67]
	v_add_f64 v[70:71], v[38:39], v[74:75]
	;; [unrolled: 1-line block ×3, first 2 shown]
	v_fmac_f64_e32 v[50:51], -0.5, v[38:39]
	v_add_f64 v[38:39], v[64:65], -v[72:73]
	v_fma_f64 v[66:67], s[8:9], v[38:39], v[50:51]
	v_fmac_f64_e32 v[50:51], s[2:3], v[38:39]
	v_mul_f64 v[72:73], v[66:67], s[2:3]
	v_mul_f64 v[74:75], v[50:51], s[2:3]
	v_mul_f64 v[78:79], v[66:67], 0.5
	v_mul_f64 v[50:51], v[50:51], -0.5
	v_add_u32_e32 v23, 0x1e00, v21
	v_add_u32_e32 v22, 0x2d00, v21
	;; [unrolled: 1-line block ×3, first 2 shown]
	v_add_f64 v[2:3], v[76:77], v[40:41]
	v_fmac_f64_e32 v[72:73], 0.5, v[62:63]
	v_fmac_f64_e32 v[74:75], -0.5, v[48:49]
	v_fmac_f64_e32 v[78:79], s[8:9], v[62:63]
	v_fmac_f64_e32 v[50:51], s[8:9], v[48:49]
	v_add_f64 v[14:15], v[76:77], -v[40:41]
	v_add_f64 v[38:39], v[32:33], v[68:69]
	v_add_f64 v[60:61], v[42:43], v[72:73]
	;; [unrolled: 1-line block ×6, first 2 shown]
	v_add_f64 v[68:69], v[32:33], -v[68:69]
	v_add_f64 v[72:73], v[42:43], -v[72:73]
	;; [unrolled: 1-line block ×6, first 2 shown]
	s_barrier
	ds_write_b128 v35, v[0:3]
	ds_write_b128 v35, v[4:7] offset:160
	ds_write_b128 v35, v[8:11] offset:320
	;; [unrolled: 1-line block ×5, first 2 shown]
	ds_write_b128 v34, v[38:41]
	ds_write_b128 v34, v[60:63] offset:160
	ds_write_b128 v34, v[64:67] offset:320
	;; [unrolled: 1-line block ×5, first 2 shown]
	s_and_saveexec_b64 s[12:13], s[0:1]
	s_cbranch_execz .LBB0_21
; %bb.20:
	v_accvgpr_read_b32 v24, a54
	v_accvgpr_read_b32 v26, a56
	;; [unrolled: 1-line block ×4, first 2 shown]
	v_mul_f64 v[0:1], v[54:55], v[196:197]
	v_accvgpr_read_b32 v25, a55
	v_mul_f64 v[2:3], v[26:27], v[216:217]
	v_accvgpr_read_b32 v42, a46
	v_accvgpr_read_b32 v40, a52
	;; [unrolled: 1-line block ×3, first 2 shown]
	v_fma_f64 v[0:1], v[52:53], v[198:199], -v[0:1]
	v_fma_f64 v[4:5], v[24:25], v[218:219], -v[2:3]
	v_accvgpr_read_b32 v44, a48
	v_accvgpr_read_b32 v45, a49
	v_accvgpr_read_b32 v39, a51
	v_mul_f64 v[28:29], v[40:41], v[206:207]
	v_mul_f64 v[30:31], v[58:59], v[214:215]
	v_add_f64 v[2:3], v[4:5], v[0:1]
	v_mul_f64 v[14:15], v[26:27], v[218:219]
	v_accvgpr_read_b32 v43, a47
	v_mul_f64 v[26:27], v[44:45], v[106:107]
	v_fmac_f64_e32 v[28:29], v[38:39], v[204:205]
	v_fmac_f64_e32 v[30:31], v[56:57], v[212:213]
	v_fma_f64 v[12:13], -0.5, v[2:3], v[102:103]
	v_fmac_f64_e32 v[26:27], v[42:43], v[104:105]
	v_add_f64 v[2:3], v[28:29], v[30:31]
	v_fma_f64 v[32:33], -0.5, v[2:3], v[26:27]
	v_mul_f64 v[2:3], v[40:41], v[204:205]
	v_fma_f64 v[10:11], v[38:39], v[206:207], -v[2:3]
	v_mul_f64 v[2:3], v[58:59], v[212:213]
	v_fma_f64 v[34:35], v[56:57], v[214:215], -v[2:3]
	;; [unrolled: 2-line block ×3, first 2 shown]
	v_add_f64 v[2:3], v[10:11], v[34:35]
	v_fma_f64 v[44:45], -0.5, v[2:3], v[42:43]
	v_add_f64 v[46:47], v[28:29], -v[30:31]
	v_mul_f64 v[8:9], v[54:55], v[198:199]
	v_add_f64 v[38:39], v[10:11], -v[34:35]
	v_fma_f64 v[48:49], s[2:3], v[46:47], v[44:45]
	v_fmac_f64_e32 v[8:9], v[52:53], v[196:197]
	v_fmac_f64_e32 v[14:15], v[24:25], v[216:217]
	v_fma_f64 v[40:41], s[8:9], v[38:39], v[32:33]
	v_mul_f64 v[50:51], v[48:49], -0.5
	v_fmac_f64_e32 v[44:45], s[8:9], v[46:47]
	v_mul_f64 v[48:49], v[48:49], s[2:3]
	v_add_f64 v[6:7], v[8:9], -v[14:15]
	v_fmac_f64_e32 v[50:51], s[8:9], v[40:41]
	v_fmac_f64_e32 v[32:33], s[2:3], v[38:39]
	v_mul_f64 v[38:39], v[44:45], 0.5
	v_add_f64 v[10:11], v[10:11], v[42:43]
	v_add_f64 v[42:43], v[14:15], v[8:9]
	v_fmac_f64_e32 v[48:49], -0.5, v[40:41]
	v_mul_f64 v[40:41], v[44:45], s[2:3]
	v_add_f64 v[8:9], v[8:9], v[100:101]
	v_fmac_f64_e32 v[38:39], s[8:9], v[32:33]
	v_fmac_f64_e32 v[40:41], 0.5, v[32:33]
	v_add_f64 v[32:33], v[14:15], v[8:9]
	v_add_f64 v[8:9], v[28:29], v[26:27]
	;; [unrolled: 1-line block ×6, first 2 shown]
	v_fma_f64 v[42:43], -0.5, v[42:43], v[100:101]
	v_add_f64 v[4:5], v[0:1], -v[4:5]
	v_add_f64 v[8:9], v[32:33], -v[28:29]
	v_add_f64 v[28:29], v[32:33], v[28:29]
	v_accvgpr_read_b32 v32, a58
	v_fma_f64 v[24:25], s[2:3], v[6:7], v[12:13]
	v_fmac_f64_e32 v[12:13], s[8:9], v[6:7]
	v_fma_f64 v[52:53], s[8:9], v[4:5], v[42:43]
	v_fmac_f64_e32 v[42:43], s[2:3], v[4:5]
	v_add_f64 v[30:31], v[46:47], v[34:35]
	v_add_lshl_u32 v32, v37, v32, 4
	v_add_f64 v[2:3], v[24:25], -v[50:51]
	v_add_f64 v[6:7], v[12:13], -v[38:39]
	;; [unrolled: 1-line block ×5, first 2 shown]
	v_add_f64 v[14:15], v[24:25], v[50:51]
	v_add_f64 v[26:27], v[12:13], v[38:39]
	;; [unrolled: 1-line block ×4, first 2 shown]
	ds_write_b128 v32, v[28:31]
	ds_write_b128 v32, v[24:27] offset:160
	ds_write_b128 v32, v[12:15] offset:320
	ds_write_b128 v32, v[8:11] offset:480
	ds_write_b128 v32, v[4:7] offset:640
	ds_write_b128 v32, v[0:3] offset:800
.LBB0_21:
	s_or_b64 exec, exec, s[12:13]
	v_mad_u64_u32 v[2:3], s[0:1], s6, v20, 0
	v_mov_b32_e32 v4, v3
	v_accvgpr_read_b32 v3, a44
	s_waitcnt lgkmcnt(0)
	s_barrier
	ds_read_b128 v[6:9], v3
	ds_read_b128 v[10:13], v21 offset:1920
	ds_read_b128 v[24:27], v21 offset:3840
	;; [unrolled: 1-line block ×15, first 2 shown]
	s_waitcnt lgkmcnt(14)
	v_mul_f64 v[14:15], v[134:135], v[12:13]
	v_fmac_f64_e32 v[14:15], v[132:133], v[10:11]
	v_mul_f64 v[10:11], v[134:135], v[10:11]
	v_fma_f64 v[10:11], v[132:133], v[12:13], -v[10:11]
	s_waitcnt lgkmcnt(13)
	v_mul_f64 v[12:13], v[118:119], v[26:27]
	v_fmac_f64_e32 v[12:13], v[116:117], v[24:25]
	v_mul_f64 v[24:25], v[118:119], v[24:25]
	v_fma_f64 v[24:25], v[116:117], v[26:27], -v[24:25]
	;; [unrolled: 5-line block ×15, first 2 shown]
	v_add_f64 v[48:49], v[6:7], -v[48:49]
	v_add_f64 v[50:51], v[8:9], -v[50:51]
	;; [unrolled: 1-line block ×12, first 2 shown]
	s_mov_b32 s0, 0x667f3bcd
	v_fma_f64 v[6:7], v[6:7], 2.0, -v[48:49]
	v_fma_f64 v[30:31], v[30:31], 2.0, -v[64:65]
	v_fma_f64 v[32:33], v[32:33], 2.0, -v[66:67]
	v_fma_f64 v[12:13], v[12:13], 2.0, -v[56:57]
	v_fma_f64 v[40:41], v[40:41], 2.0, -v[72:73]
	v_fma_f64 v[42:43], v[42:43], 2.0, -v[74:75]
	v_add_f64 v[54:55], v[10:11], -v[54:55]
	v_fma_f64 v[14:15], v[14:15], 2.0, -v[52:53]
	v_add_f64 v[70:71], v[38:39], -v[70:71]
	v_fma_f64 v[34:35], v[34:35], 2.0, -v[68:69]
	;; [unrolled: 2-line block ×4, first 2 shown]
	v_add_f64 v[66:67], v[48:49], v[66:67]
	v_add_f64 v[64:65], v[50:51], -v[64:65]
	v_add_f64 v[74:75], v[56:57], v[74:75]
	v_add_f64 v[72:73], v[58:59], -v[72:73]
	s_mov_b32 s1, 0xbfe6a09e
	s_mov_b32 s3, 0x3fe6a09e
	;; [unrolled: 1-line block ×3, first 2 shown]
	v_fma_f64 v[8:9], v[8:9], 2.0, -v[50:51]
	v_fma_f64 v[24:25], v[24:25], 2.0, -v[58:59]
	;; [unrolled: 1-line block ×6, first 2 shown]
	v_add_f64 v[30:31], v[6:7], -v[30:31]
	v_fma_f64 v[48:49], v[48:49], 2.0, -v[66:67]
	v_add_f64 v[40:41], v[12:13], -v[40:41]
	v_fma_f64 v[56:57], v[56:57], 2.0, -v[74:75]
	v_add_f64 v[34:35], v[14:15], -v[34:35]
	v_add_f64 v[44:45], v[26:27], -v[44:45]
	v_fma_f64 v[94:95], s[2:3], v[72:73], v[64:65]
	v_add_f64 v[32:33], v[8:9], -v[32:33]
	v_fma_f64 v[6:7], v[6:7], 2.0, -v[30:31]
	v_fma_f64 v[50:51], v[50:51], 2.0, -v[64:65]
	v_add_f64 v[42:43], v[24:25], -v[42:43]
	v_fma_f64 v[12:13], v[12:13], 2.0, -v[40:41]
	v_fma_f64 v[58:59], v[58:59], 2.0, -v[72:73]
	v_add_f64 v[38:39], v[10:11], -v[38:39]
	v_fma_f64 v[14:15], v[14:15], 2.0, -v[34:35]
	v_add_f64 v[70:71], v[52:53], v[70:71]
	v_add_f64 v[68:69], v[54:55], -v[68:69]
	v_add_f64 v[46:47], v[28:29], -v[46:47]
	v_fma_f64 v[26:27], v[26:27], 2.0, -v[44:45]
	v_add_f64 v[78:79], v[60:61], v[78:79]
	v_add_f64 v[76:77], v[62:63], -v[76:77]
	v_fma_f64 v[84:85], s[0:1], v[56:57], v[48:49]
	v_fma_f64 v[92:93], s[2:3], v[74:75], v[66:67]
	v_fmac_f64_e32 v[94:95], s[0:1], v[74:75]
	v_fma_f64 v[8:9], v[8:9], 2.0, -v[32:33]
	v_fma_f64 v[24:25], v[24:25], 2.0, -v[42:43]
	;; [unrolled: 1-line block ×8, first 2 shown]
	v_add_f64 v[80:81], v[6:7], -v[12:13]
	v_fma_f64 v[86:87], s[0:1], v[58:59], v[50:51]
	v_fmac_f64_e32 v[84:85], s[2:3], v[58:59]
	v_fmac_f64_e32 v[92:93], s[2:3], v[72:73]
	v_fma_f64 v[58:59], v[64:65], 2.0, -v[94:95]
	v_add_f64 v[64:65], v[14:15], -v[26:27]
	v_add_f64 v[82:83], v[8:9], -v[24:25]
	v_fma_f64 v[12:13], v[6:7], 2.0, -v[80:81]
	v_fmac_f64_e32 v[86:87], s[0:1], v[56:57]
	v_add_f64 v[90:91], v[32:33], -v[40:41]
	v_fma_f64 v[56:57], v[66:67], 2.0, -v[92:93]
	v_add_f64 v[66:67], v[10:11], -v[28:29]
	v_fma_f64 v[6:7], v[14:15], 2.0, -v[64:65]
	v_fma_f64 v[14:15], s[0:1], v[60:61], v[52:53]
	v_fma_f64 v[72:73], s[0:1], v[62:63], v[54:55]
	v_add_f64 v[96:97], v[38:39], -v[44:45]
	v_fma_f64 v[100:101], s[2:3], v[76:77], v[68:69]
	v_mov_b32_e32 v0, s10
	v_mov_b32_e32 v1, s11
	v_fma_f64 v[24:25], v[8:9], 2.0, -v[82:83]
	v_add_f64 v[88:89], v[30:31], v[42:43]
	v_fma_f64 v[42:43], v[32:33], 2.0, -v[90:91]
	v_fma_f64 v[8:9], v[10:11], 2.0, -v[66:67]
	v_fmac_f64_e32 v[14:15], s[2:3], v[62:63]
	v_fmac_f64_e32 v[72:73], s[0:1], v[60:61]
	v_add_f64 v[74:75], v[34:35], v[46:47]
	v_fma_f64 v[38:39], v[38:39], 2.0, -v[96:97]
	v_fma_f64 v[98:99], s[2:3], v[78:79], v[70:71]
	v_fmac_f64_e32 v[100:101], s[0:1], v[78:79]
	s_mov_b32 s10, 0xcf328d46
	s_mov_b32 s8, 0xa6aea964
	v_fma_f64 v[48:49], v[48:49], 2.0, -v[84:85]
	v_fma_f64 v[50:51], v[50:51], 2.0, -v[86:87]
	;; [unrolled: 1-line block ×6, first 2 shown]
	v_fmac_f64_e32 v[98:99], s[2:3], v[76:77]
	v_fma_f64 v[52:53], v[68:69], 2.0, -v[100:101]
	v_add_f64 v[6:7], v[12:13], -v[6:7]
	v_add_f64 v[8:9], v[24:25], -v[8:9]
	s_mov_b32 s11, 0xbfed906b
	s_mov_b32 s9, 0x3fd87de2
	;; [unrolled: 1-line block ×4, first 2 shown]
	v_fma_f64 v[34:35], s[0:1], v[38:39], v[42:43]
	v_fma_f64 v[46:47], v[70:71], 2.0, -v[98:99]
	v_fma_f64 v[10:11], v[12:13], 2.0, -v[6:7]
	;; [unrolled: 1-line block ×3, first 2 shown]
	v_fma_f64 v[24:25], s[10:11], v[28:29], v[48:49]
	v_fma_f64 v[26:27], s[10:11], v[30:31], v[50:51]
	;; [unrolled: 1-line block ×3, first 2 shown]
	v_fmac_f64_e32 v[34:35], s[0:1], v[44:45]
	v_fma_f64 v[44:45], s[12:13], v[52:53], v[58:59]
	v_fmac_f64_e32 v[24:25], s[8:9], v[30:31]
	v_fmac_f64_e32 v[26:27], s[12:13], v[28:29]
	;; [unrolled: 1-line block ×3, first 2 shown]
	s_mov_b32 s15, 0x3fed906b
	s_mov_b32 s14, s10
	v_fmac_f64_e32 v[44:45], s[10:11], v[46:47]
	v_fma_f64 v[68:69], s[2:3], v[96:97], v[90:91]
	v_fma_f64 v[28:29], v[48:49], 2.0, -v[24:25]
	v_fma_f64 v[30:31], v[50:51], 2.0, -v[26:27]
	;; [unrolled: 1-line block ×4, first 2 shown]
	v_fma_f64 v[42:43], s[12:13], v[46:47], v[56:57]
	v_fma_f64 v[48:49], v[58:59], 2.0, -v[44:45]
	v_add_f64 v[50:51], v[80:81], v[66:67]
	v_fma_f64 v[58:59], s[8:9], v[14:15], v[84:85]
	v_fma_f64 v[60:61], s[8:9], v[72:73], v[86:87]
	;; [unrolled: 1-line block ×3, first 2 shown]
	v_fmac_f64_e32 v[68:69], s[0:1], v[74:75]
	v_fma_f64 v[74:75], s[14:15], v[98:99], v[92:93]
	v_fmac_f64_e32 v[42:43], s[14:15], v[52:53]
	v_add_f64 v[52:53], v[82:83], -v[64:65]
	v_fmac_f64_e32 v[58:59], s[14:15], v[72:73]
	v_fmac_f64_e32 v[60:61], s[10:11], v[14:15]
	;; [unrolled: 1-line block ×3, first 2 shown]
	v_fma_f64 v[76:77], s[14:15], v[100:101], v[94:95]
	v_fmac_f64_e32 v[74:75], s[8:9], v[100:101]
	v_fma_f64 v[46:47], v[56:57], 2.0, -v[42:43]
	v_fma_f64 v[54:55], v[80:81], 2.0, -v[50:51]
	;; [unrolled: 1-line block ×7, first 2 shown]
	v_fmac_f64_e32 v[76:77], s[12:13], v[98:99]
	v_fma_f64 v[78:79], v[92:93], 2.0, -v[74:75]
	v_fma_f64 v[80:81], v[94:95], 2.0, -v[76:77]
	s_barrier
	ds_write_b128 v36, v[10:13]
	ds_write_b128 v36, v[28:31] offset:960
	ds_write_b128 v36, v[38:41] offset:1920
	;; [unrolled: 1-line block ×15, first 2 shown]
	s_waitcnt lgkmcnt(0)
	s_barrier
	ds_read_b128 v[6:9], v3
	ds_read_b128 v[10:13], v21 offset:1920
	ds_read_b128 v[24:27], v21 offset:15360
	;; [unrolled: 1-line block ×15, first 2 shown]
	s_waitcnt lgkmcnt(13)
	v_mul_f64 v[14:15], v[170:171], v[26:27]
	v_fmac_f64_e32 v[14:15], v[168:169], v[24:25]
	v_mul_f64 v[24:25], v[170:171], v[24:25]
	v_fma_f64 v[26:27], v[168:169], v[26:27], -v[24:25]
	s_waitcnt lgkmcnt(12)
	v_mul_f64 v[24:25], v[174:175], v[28:29]
	v_mul_f64 v[80:81], v[174:175], v[30:31]
	v_fma_f64 v[30:31], v[172:173], v[30:31], -v[24:25]
	s_waitcnt lgkmcnt(9)
	v_mul_f64 v[24:25], v[178:179], v[40:41]
	v_mul_f64 v[82:83], v[178:179], v[42:43]
	v_fma_f64 v[42:43], v[176:177], v[42:43], -v[24:25]
	s_waitcnt lgkmcnt(8)
	v_mul_f64 v[24:25], v[182:183], v[44:45]
	v_mul_f64 v[84:85], v[182:183], v[46:47]
	v_fma_f64 v[46:47], v[180:181], v[46:47], -v[24:25]
	s_waitcnt lgkmcnt(5)
	v_mul_f64 v[24:25], v[186:187], v[56:57]
	v_mul_f64 v[86:87], v[186:187], v[58:59]
	v_fma_f64 v[58:59], v[184:185], v[58:59], -v[24:25]
	s_waitcnt lgkmcnt(4)
	v_mul_f64 v[24:25], v[190:191], v[60:61]
	v_mul_f64 v[88:89], v[190:191], v[62:63]
	v_fma_f64 v[62:63], v[188:189], v[62:63], -v[24:25]
	s_waitcnt lgkmcnt(1)
	v_mul_f64 v[24:25], v[194:195], v[72:73]
	v_mul_f64 v[90:91], v[194:195], v[74:75]
	v_fma_f64 v[74:75], v[192:193], v[74:75], -v[24:25]
	s_waitcnt lgkmcnt(0)
	v_mul_f64 v[92:93], v[202:203], v[78:79]
	v_mul_f64 v[24:25], v[202:203], v[76:77]
	v_fmac_f64_e32 v[80:81], v[172:173], v[28:29]
	v_fmac_f64_e32 v[82:83], v[176:177], v[40:41]
	;; [unrolled: 1-line block ×7, first 2 shown]
	v_fma_f64 v[78:79], v[200:201], v[78:79], -v[24:25]
	v_add_f64 v[24:25], v[6:7], -v[14:15]
	v_add_f64 v[26:27], v[8:9], -v[26:27]
	v_fma_f64 v[6:7], v[6:7], 2.0, -v[24:25]
	v_fma_f64 v[8:9], v[8:9], 2.0, -v[26:27]
	v_add_f64 v[28:29], v[10:11], -v[80:81]
	v_add_f64 v[30:31], v[12:13], -v[30:31]
	;; [unrolled: 1-line block ×14, first 2 shown]
	v_fma_f64 v[10:11], v[10:11], 2.0, -v[28:29]
	v_fma_f64 v[12:13], v[12:13], 2.0, -v[30:31]
	;; [unrolled: 1-line block ×14, first 2 shown]
	ds_write_b128 v3, v[6:9]
	ds_write_b128 v21, v[24:27] offset:15360
	ds_write_b128 v21, v[10:13] offset:1920
	;; [unrolled: 1-line block ×15, first 2 shown]
	s_waitcnt lgkmcnt(0)
	s_barrier
	ds_read_b128 v[6:9], v3
	ds_read_b128 v[10:13], v21 offset:3072
	v_accvgpr_read_b32 v25, a23
	v_mad_u64_u32 v[4:5], s[0:1], s7, v20, v[4:5]
	v_accvgpr_read_b32 v24, a22
	v_mov_b32_e32 v3, v4
	v_accvgpr_read_b32 v23, a21
	v_accvgpr_read_b32 v22, a20
	s_waitcnt lgkmcnt(1)
	v_mul_f64 v[4:5], v[24:25], v[8:9]
	v_fmac_f64_e32 v[4:5], v[22:23], v[6:7]
	v_mul_f64 v[6:7], v[24:25], v[6:7]
	v_fma_f64 v[6:7], v[22:23], v[8:9], -v[6:7]
	v_mad_u64_u32 v[8:9], s[2:3], s4, v18, 0
	v_mov_b32_e32 v14, v9
	s_mov_b32 s0, 0x11111111
	v_mad_u64_u32 v[14:15], s[2:3], s5, v18, v[14:15]
	s_mov_b32 s1, 0x3f411111
	v_mov_b32_e32 v9, v14
	v_lshl_add_u64 v[0:1], v[2:3], 4, v[0:1]
	v_mul_f64 v[4:5], v[4:5], s[0:1]
	v_mul_f64 v[6:7], v[6:7], s[0:1]
	v_lshl_add_u64 v[14:15], v[8:9], 4, v[0:1]
	global_store_dwordx4 v[14:15], v[4:7], off
	v_accvgpr_read_b32 v9, a7
	v_accvgpr_read_b32 v8, a6
	;; [unrolled: 1-line block ×4, first 2 shown]
	s_waitcnt lgkmcnt(0)
	v_mul_f64 v[2:3], v[8:9], v[12:13]
	v_mul_f64 v[4:5], v[8:9], v[10:11]
	v_fmac_f64_e32 v[2:3], v[6:7], v[10:11]
	v_fma_f64 v[4:5], v[6:7], v[12:13], -v[4:5]
	ds_read_b128 v[6:9], v21 offset:6144
	s_mul_i32 s2, s5, 0xc0
	s_mul_hi_u32 s3, s4, 0xc0
	s_add_i32 s3, s3, s2
	s_mul_i32 s2, s4, 0xc0
	v_accvgpr_read_b32 v22, a32
	v_mul_f64 v[2:3], v[2:3], s[0:1]
	v_mul_f64 v[4:5], v[4:5], s[0:1]
	v_lshl_add_u64 v[14:15], s[2:3], 4, v[14:15]
	v_accvgpr_read_b32 v24, a34
	v_accvgpr_read_b32 v25, a35
	global_store_dwordx4 v[14:15], v[2:5], off
	ds_read_b128 v[2:5], v21 offset:9216
	v_accvgpr_read_b32 v23, a33
	s_waitcnt lgkmcnt(1)
	v_mul_f64 v[10:11], v[24:25], v[8:9]
	v_fmac_f64_e32 v[10:11], v[22:23], v[6:7]
	v_mul_f64 v[6:7], v[24:25], v[6:7]
	v_fma_f64 v[6:7], v[22:23], v[8:9], -v[6:7]
	v_accvgpr_read_b32 v9, a0
	v_mul_f64 v[12:13], v[6:7], s[0:1]
	v_mad_u64_u32 v[6:7], s[6:7], s4, v9, 0
	v_mov_b32_e32 v8, v7
	v_mad_u64_u32 v[8:9], s[6:7], s5, v9, v[8:9]
	v_mov_b32_e32 v7, v8
	v_mul_f64 v[10:11], v[10:11], s[0:1]
	v_lshl_add_u64 v[6:7], v[6:7], 4, v[0:1]
	global_store_dwordx4 v[6:7], v[10:13], off
	v_accvgpr_read_b32 v8, a8
	v_accvgpr_read_b32 v9, a9
	;; [unrolled: 1-line block ×4, first 2 shown]
	s_waitcnt lgkmcnt(0)
	v_mul_f64 v[6:7], v[10:11], v[4:5]
	v_fmac_f64_e32 v[6:7], v[8:9], v[2:3]
	v_mul_f64 v[2:3], v[10:11], v[2:3]
	v_fma_f64 v[2:3], v[8:9], v[4:5], -v[2:3]
	v_mul_f64 v[8:9], v[2:3], s[0:1]
	ds_read_b128 v[2:5], v21 offset:12288
	v_mov_b32_e32 v18, 0x1800
	v_mad_u64_u32 v[14:15], s[6:7], s4, v18, v[14:15]
	s_mul_i32 s6, s5, 0x1800
	v_accvgpr_read_b32 v22, a36
	v_mul_f64 v[6:7], v[6:7], s[0:1]
	v_add_u32_e32 v15, s6, v15
	v_accvgpr_read_b32 v24, a38
	v_accvgpr_read_b32 v25, a39
	global_store_dwordx4 v[14:15], v[6:9], off
	ds_read_b128 v[6:9], v21 offset:15360
	v_accvgpr_read_b32 v23, a37
	s_waitcnt lgkmcnt(1)
	v_mul_f64 v[10:11], v[24:25], v[4:5]
	v_fmac_f64_e32 v[10:11], v[22:23], v[2:3]
	v_mul_f64 v[2:3], v[24:25], v[2:3]
	v_fma_f64 v[2:3], v[22:23], v[4:5], -v[2:3]
	v_accvgpr_read_b32 v5, a1
	v_mul_f64 v[12:13], v[2:3], s[0:1]
	v_mad_u64_u32 v[2:3], s[8:9], s4, v5, 0
	v_mov_b32_e32 v4, v3
	v_mad_u64_u32 v[4:5], s[8:9], s5, v5, v[4:5]
	v_mov_b32_e32 v3, v4
	v_mul_f64 v[10:11], v[10:11], s[0:1]
	v_lshl_add_u64 v[2:3], v[2:3], 4, v[0:1]
	global_store_dwordx4 v[2:3], v[10:13], off
	v_mad_u64_u32 v[14:15], s[8:9], s4, v18, v[14:15]
	s_nop 0
	v_accvgpr_read_b32 v10, a16
	v_accvgpr_read_b32 v12, a18
	;; [unrolled: 1-line block ×4, first 2 shown]
	s_waitcnt lgkmcnt(0)
	v_mul_f64 v[2:3], v[12:13], v[8:9]
	v_mul_f64 v[4:5], v[12:13], v[6:7]
	v_fmac_f64_e32 v[2:3], v[10:11], v[6:7]
	v_fma_f64 v[4:5], v[10:11], v[8:9], -v[4:5]
	ds_read_b128 v[6:9], v21 offset:18432
	v_accvgpr_read_b32 v22, a40
	v_mul_f64 v[2:3], v[2:3], s[0:1]
	v_mul_f64 v[4:5], v[4:5], s[0:1]
	v_add_u32_e32 v15, s6, v15
	v_accvgpr_read_b32 v24, a42
	v_accvgpr_read_b32 v25, a43
	global_store_dwordx4 v[14:15], v[2:5], off
	ds_read_b128 v[2:5], v21 offset:21504
	v_accvgpr_read_b32 v23, a41
	s_waitcnt lgkmcnt(1)
	v_mul_f64 v[10:11], v[24:25], v[8:9]
	v_fmac_f64_e32 v[10:11], v[22:23], v[6:7]
	v_mul_f64 v[6:7], v[24:25], v[6:7]
	v_fma_f64 v[6:7], v[22:23], v[8:9], -v[6:7]
	v_accvgpr_read_b32 v9, a2
	v_mul_f64 v[12:13], v[6:7], s[0:1]
	v_mad_u64_u32 v[6:7], s[8:9], s4, v9, 0
	v_mov_b32_e32 v8, v7
	v_mad_u64_u32 v[8:9], s[8:9], s5, v9, v[8:9]
	v_mov_b32_e32 v7, v8
	v_mul_f64 v[10:11], v[10:11], s[0:1]
	v_lshl_add_u64 v[6:7], v[6:7], 4, v[0:1]
	global_store_dwordx4 v[6:7], v[10:13], off
	v_accvgpr_read_b32 v8, a24
	v_accvgpr_read_b32 v9, a25
	;; [unrolled: 1-line block ×4, first 2 shown]
	s_waitcnt lgkmcnt(0)
	v_mul_f64 v[6:7], v[10:11], v[4:5]
	v_fmac_f64_e32 v[6:7], v[8:9], v[2:3]
	v_mul_f64 v[2:3], v[10:11], v[2:3]
	v_fma_f64 v[2:3], v[8:9], v[4:5], -v[2:3]
	v_mul_f64 v[8:9], v[2:3], s[0:1]
	ds_read_b128 v[2:5], v21 offset:24576
	v_mad_u64_u32 v[14:15], s[8:9], s4, v18, v[14:15]
	v_accvgpr_read_b32 v25, a15
	v_mul_f64 v[6:7], v[6:7], s[0:1]
	v_add_u32_e32 v15, s6, v15
	v_accvgpr_read_b32 v24, a14
	global_store_dwordx4 v[14:15], v[6:9], off
	ds_read_b128 v[6:9], v21 offset:27648
	v_accvgpr_read_b32 v23, a13
	v_accvgpr_read_b32 v22, a12
	s_waitcnt lgkmcnt(1)
	v_mul_f64 v[10:11], v[24:25], v[4:5]
	v_fmac_f64_e32 v[10:11], v[22:23], v[2:3]
	v_mul_f64 v[2:3], v[24:25], v[2:3]
	v_fma_f64 v[2:3], v[22:23], v[4:5], -v[2:3]
	v_accvgpr_read_b32 v5, a3
	v_mul_f64 v[12:13], v[2:3], s[0:1]
	v_mad_u64_u32 v[2:3], s[8:9], s4, v5, 0
	v_mov_b32_e32 v4, v3
	v_mad_u64_u32 v[4:5], s[8:9], s5, v5, v[4:5]
	v_mov_b32_e32 v3, v4
	v_mul_f64 v[10:11], v[10:11], s[0:1]
	v_lshl_add_u64 v[0:1], v[2:3], 4, v[0:1]
	global_store_dwordx4 v[0:1], v[10:13], off
	s_nop 1
	v_accvgpr_read_b32 v10, a28
	v_accvgpr_read_b32 v12, a30
	v_accvgpr_read_b32 v13, a31
	v_accvgpr_read_b32 v11, a29
	s_waitcnt lgkmcnt(0)
	v_mul_f64 v[0:1], v[12:13], v[8:9]
	v_fmac_f64_e32 v[0:1], v[10:11], v[6:7]
	v_mul_f64 v[2:3], v[0:1], s[0:1]
	v_mul_f64 v[0:1], v[12:13], v[6:7]
	v_fma_f64 v[0:1], v[10:11], v[8:9], -v[0:1]
	v_mul_f64 v[4:5], v[0:1], s[0:1]
	v_mad_u64_u32 v[0:1], s[8:9], s4, v18, v[14:15]
	v_add_u32_e32 v1, s6, v1
	global_store_dwordx4 v[0:1], v[2:5], off
	s_and_b64 exec, exec, vcc
	s_cbranch_execz .LBB0_23
; %bb.22:
	global_load_dwordx4 v[2:5], v[16:17], off offset:1920
	ds_read_b128 v[6:9], v21 offset:1920
	ds_read_b128 v[10:13], v21 offset:4992
	v_mov_b32_e32 v14, 0xffff9b80
	s_mulk_i32 s5, 0x9b80
	v_mad_u64_u32 v[14:15], s[6:7], s4, v14, v[0:1]
	s_movk_i32 s8, 0x1000
	s_sub_i32 s4, s5, s4
	v_add_co_u32_e32 v18, vcc, s8, v16
	v_add_u32_e32 v15, s4, v15
	s_nop 0
	v_addc_co_u32_e32 v19, vcc, 0, v17, vcc
	s_lshl_b64 s[2:3], s[2:3], 4
	s_movk_i32 s4, 0x2000
	s_waitcnt vmcnt(0) lgkmcnt(1)
	v_mul_f64 v[0:1], v[8:9], v[4:5]
	v_mul_f64 v[4:5], v[6:7], v[4:5]
	v_fmac_f64_e32 v[0:1], v[6:7], v[2:3]
	v_fma_f64 v[2:3], v[2:3], v[8:9], -v[4:5]
	v_mul_f64 v[0:1], v[0:1], s[0:1]
	v_mul_f64 v[2:3], v[2:3], s[0:1]
	global_store_dwordx4 v[14:15], v[0:3], off
	global_load_dwordx4 v[0:3], v[18:19], off offset:896
	v_lshl_add_u64 v[14:15], v[14:15], 0, s[2:3]
	s_waitcnt vmcnt(0) lgkmcnt(0)
	v_mul_f64 v[4:5], v[12:13], v[2:3]
	v_mul_f64 v[2:3], v[10:11], v[2:3]
	v_fmac_f64_e32 v[4:5], v[10:11], v[0:1]
	v_fma_f64 v[2:3], v[0:1], v[12:13], -v[2:3]
	v_mul_f64 v[0:1], v[4:5], s[0:1]
	v_mul_f64 v[2:3], v[2:3], s[0:1]
	global_store_dwordx4 v[14:15], v[0:3], off
	global_load_dwordx4 v[0:3], v[18:19], off offset:3968
	ds_read_b128 v[4:7], v21 offset:8064
	ds_read_b128 v[8:11], v21 offset:11136
	v_add_co_u32_e32 v12, vcc, s4, v16
	v_lshl_add_u64 v[14:15], v[14:15], 0, s[2:3]
	s_nop 0
	v_addc_co_u32_e32 v13, vcc, 0, v17, vcc
	s_movk_i32 s4, 0x3000
	s_waitcnt vmcnt(0) lgkmcnt(1)
	v_mul_f64 v[18:19], v[6:7], v[2:3]
	v_mul_f64 v[2:3], v[4:5], v[2:3]
	v_fmac_f64_e32 v[18:19], v[4:5], v[0:1]
	v_fma_f64 v[2:3], v[0:1], v[6:7], -v[2:3]
	v_mul_f64 v[0:1], v[18:19], s[0:1]
	v_mul_f64 v[2:3], v[2:3], s[0:1]
	global_store_dwordx4 v[14:15], v[0:3], off
	global_load_dwordx4 v[0:3], v[12:13], off offset:2944
	v_add_co_u32_e32 v4, vcc, s4, v16
	v_lshl_add_u64 v[12:13], v[14:15], 0, s[2:3]
	s_nop 0
	v_addc_co_u32_e32 v5, vcc, 0, v17, vcc
	s_movk_i32 s4, 0x4000
	v_add_co_u32_e32 v14, vcc, s4, v16
	s_movk_i32 s4, 0x5000
	s_nop 0
	v_addc_co_u32_e32 v15, vcc, 0, v17, vcc
	s_waitcnt vmcnt(0) lgkmcnt(0)
	v_mul_f64 v[6:7], v[10:11], v[2:3]
	v_mul_f64 v[2:3], v[8:9], v[2:3]
	v_fmac_f64_e32 v[6:7], v[8:9], v[0:1]
	v_fma_f64 v[2:3], v[0:1], v[10:11], -v[2:3]
	v_mul_f64 v[0:1], v[6:7], s[0:1]
	v_mul_f64 v[2:3], v[2:3], s[0:1]
	global_store_dwordx4 v[12:13], v[0:3], off
	global_load_dwordx4 v[0:3], v[4:5], off offset:1920
	ds_read_b128 v[4:7], v21 offset:14208
	ds_read_b128 v[8:11], v21 offset:17280
	v_lshl_add_u64 v[12:13], v[12:13], 0, s[2:3]
	s_waitcnt vmcnt(0) lgkmcnt(1)
	v_mul_f64 v[18:19], v[6:7], v[2:3]
	v_mul_f64 v[2:3], v[4:5], v[2:3]
	v_fmac_f64_e32 v[18:19], v[4:5], v[0:1]
	v_fma_f64 v[2:3], v[0:1], v[6:7], -v[2:3]
	v_mul_f64 v[0:1], v[18:19], s[0:1]
	v_mul_f64 v[2:3], v[2:3], s[0:1]
	global_store_dwordx4 v[12:13], v[0:3], off
	global_load_dwordx4 v[0:3], v[14:15], off offset:896
	v_lshl_add_u64 v[12:13], v[12:13], 0, s[2:3]
	s_waitcnt vmcnt(0) lgkmcnt(0)
	v_mul_f64 v[4:5], v[10:11], v[2:3]
	v_mul_f64 v[2:3], v[8:9], v[2:3]
	v_fmac_f64_e32 v[4:5], v[8:9], v[0:1]
	v_fma_f64 v[2:3], v[0:1], v[10:11], -v[2:3]
	v_mul_f64 v[0:1], v[4:5], s[0:1]
	v_mul_f64 v[2:3], v[2:3], s[0:1]
	global_store_dwordx4 v[12:13], v[0:3], off
	global_load_dwordx4 v[0:3], v[14:15], off offset:3968
	ds_read_b128 v[4:7], v21 offset:20352
	ds_read_b128 v[8:11], v21 offset:23424
	v_add_co_u32_e32 v14, vcc, s4, v16
	v_lshl_add_u64 v[12:13], v[12:13], 0, s[2:3]
	s_nop 0
	v_addc_co_u32_e32 v15, vcc, 0, v17, vcc
	s_movk_i32 s4, 0x6000
	s_waitcnt vmcnt(0) lgkmcnt(1)
	v_mul_f64 v[18:19], v[6:7], v[2:3]
	v_mul_f64 v[2:3], v[4:5], v[2:3]
	v_fmac_f64_e32 v[18:19], v[4:5], v[0:1]
	v_fma_f64 v[2:3], v[0:1], v[6:7], -v[2:3]
	v_mul_f64 v[0:1], v[18:19], s[0:1]
	v_mul_f64 v[2:3], v[2:3], s[0:1]
	global_store_dwordx4 v[12:13], v[0:3], off
	global_load_dwordx4 v[0:3], v[14:15], off offset:2944
	v_add_co_u32_e32 v4, vcc, s4, v16
	v_lshl_add_u64 v[12:13], v[12:13], 0, s[2:3]
	s_nop 0
	v_addc_co_u32_e32 v5, vcc, 0, v17, vcc
	s_movk_i32 s4, 0x7000
	v_add_co_u32_e32 v14, vcc, s4, v16
	s_waitcnt vmcnt(0) lgkmcnt(0)
	v_mul_f64 v[6:7], v[10:11], v[2:3]
	v_mul_f64 v[2:3], v[8:9], v[2:3]
	v_fmac_f64_e32 v[6:7], v[8:9], v[0:1]
	v_fma_f64 v[2:3], v[0:1], v[10:11], -v[2:3]
	v_mul_f64 v[0:1], v[6:7], s[0:1]
	v_mul_f64 v[2:3], v[2:3], s[0:1]
	global_store_dwordx4 v[12:13], v[0:3], off
	global_load_dwordx4 v[0:3], v[4:5], off offset:1920
	ds_read_b128 v[4:7], v21 offset:26496
	ds_read_b128 v[8:11], v21 offset:29568
	v_addc_co_u32_e32 v15, vcc, 0, v17, vcc
	v_lshl_add_u64 v[12:13], v[12:13], 0, s[2:3]
	s_waitcnt vmcnt(0) lgkmcnt(1)
	v_mul_f64 v[16:17], v[6:7], v[2:3]
	v_mul_f64 v[2:3], v[4:5], v[2:3]
	v_fmac_f64_e32 v[16:17], v[4:5], v[0:1]
	v_fma_f64 v[2:3], v[0:1], v[6:7], -v[2:3]
	v_mul_f64 v[0:1], v[16:17], s[0:1]
	v_mul_f64 v[2:3], v[2:3], s[0:1]
	global_store_dwordx4 v[12:13], v[0:3], off
	global_load_dwordx4 v[0:3], v[14:15], off offset:896
	s_waitcnt vmcnt(0) lgkmcnt(0)
	v_mul_f64 v[4:5], v[10:11], v[2:3]
	v_mul_f64 v[2:3], v[8:9], v[2:3]
	v_fmac_f64_e32 v[4:5], v[8:9], v[0:1]
	v_fma_f64 v[2:3], v[0:1], v[10:11], -v[2:3]
	v_mul_f64 v[0:1], v[4:5], s[0:1]
	v_mul_f64 v[2:3], v[2:3], s[0:1]
	v_lshl_add_u64 v[4:5], v[12:13], 0, s[2:3]
	global_store_dwordx4 v[4:5], v[0:3], off
.LBB0_23:
	s_endpgm
	.section	.rodata,"a",@progbits
	.p2align	6, 0x0
	.amdhsa_kernel bluestein_single_back_len1920_dim1_dp_op_CI_CI
		.amdhsa_group_segment_fixed_size 61440
		.amdhsa_private_segment_fixed_size 0
		.amdhsa_kernarg_size 104
		.amdhsa_user_sgpr_count 2
		.amdhsa_user_sgpr_dispatch_ptr 0
		.amdhsa_user_sgpr_queue_ptr 0
		.amdhsa_user_sgpr_kernarg_segment_ptr 1
		.amdhsa_user_sgpr_dispatch_id 0
		.amdhsa_user_sgpr_kernarg_preload_length 0
		.amdhsa_user_sgpr_kernarg_preload_offset 0
		.amdhsa_user_sgpr_private_segment_size 0
		.amdhsa_uses_dynamic_stack 0
		.amdhsa_enable_private_segment 0
		.amdhsa_system_sgpr_workgroup_id_x 1
		.amdhsa_system_sgpr_workgroup_id_y 0
		.amdhsa_system_sgpr_workgroup_id_z 0
		.amdhsa_system_sgpr_workgroup_info 0
		.amdhsa_system_vgpr_workitem_id 0
		.amdhsa_next_free_vgpr 317
		.amdhsa_next_free_sgpr 24
		.amdhsa_accum_offset 256
		.amdhsa_reserve_vcc 1
		.amdhsa_float_round_mode_32 0
		.amdhsa_float_round_mode_16_64 0
		.amdhsa_float_denorm_mode_32 3
		.amdhsa_float_denorm_mode_16_64 3
		.amdhsa_dx10_clamp 1
		.amdhsa_ieee_mode 1
		.amdhsa_fp16_overflow 0
		.amdhsa_tg_split 0
		.amdhsa_exception_fp_ieee_invalid_op 0
		.amdhsa_exception_fp_denorm_src 0
		.amdhsa_exception_fp_ieee_div_zero 0
		.amdhsa_exception_fp_ieee_overflow 0
		.amdhsa_exception_fp_ieee_underflow 0
		.amdhsa_exception_fp_ieee_inexact 0
		.amdhsa_exception_int_div_zero 0
	.end_amdhsa_kernel
	.text
.Lfunc_end0:
	.size	bluestein_single_back_len1920_dim1_dp_op_CI_CI, .Lfunc_end0-bluestein_single_back_len1920_dim1_dp_op_CI_CI
                                        ; -- End function
	.section	.AMDGPU.csdata,"",@progbits
; Kernel info:
; codeLenInByte = 20820
; NumSgprs: 30
; NumVgprs: 256
; NumAgprs: 61
; TotalNumVgprs: 317
; ScratchSize: 0
; MemoryBound: 0
; FloatMode: 240
; IeeeMode: 1
; LDSByteSize: 61440 bytes/workgroup (compile time only)
; SGPRBlocks: 3
; VGPRBlocks: 39
; NumSGPRsForWavesPerEU: 30
; NumVGPRsForWavesPerEU: 317
; AccumOffset: 256
; Occupancy: 1
; WaveLimiterHint : 1
; COMPUTE_PGM_RSRC2:SCRATCH_EN: 0
; COMPUTE_PGM_RSRC2:USER_SGPR: 2
; COMPUTE_PGM_RSRC2:TRAP_HANDLER: 0
; COMPUTE_PGM_RSRC2:TGID_X_EN: 1
; COMPUTE_PGM_RSRC2:TGID_Y_EN: 0
; COMPUTE_PGM_RSRC2:TGID_Z_EN: 0
; COMPUTE_PGM_RSRC2:TIDIG_COMP_CNT: 0
; COMPUTE_PGM_RSRC3_GFX90A:ACCUM_OFFSET: 63
; COMPUTE_PGM_RSRC3_GFX90A:TG_SPLIT: 0
	.text
	.p2alignl 6, 3212836864
	.fill 256, 4, 3212836864
	.type	__hip_cuid_d774b84acb3e2023,@object ; @__hip_cuid_d774b84acb3e2023
	.section	.bss,"aw",@nobits
	.globl	__hip_cuid_d774b84acb3e2023
__hip_cuid_d774b84acb3e2023:
	.byte	0                               ; 0x0
	.size	__hip_cuid_d774b84acb3e2023, 1

	.ident	"AMD clang version 19.0.0git (https://github.com/RadeonOpenCompute/llvm-project roc-6.4.0 25133 c7fe45cf4b819c5991fe208aaa96edf142730f1d)"
	.section	".note.GNU-stack","",@progbits
	.addrsig
	.addrsig_sym __hip_cuid_d774b84acb3e2023
	.amdgpu_metadata
---
amdhsa.kernels:
  - .agpr_count:     61
    .args:
      - .actual_access:  read_only
        .address_space:  global
        .offset:         0
        .size:           8
        .value_kind:     global_buffer
      - .actual_access:  read_only
        .address_space:  global
        .offset:         8
        .size:           8
        .value_kind:     global_buffer
      - .actual_access:  read_only
        .address_space:  global
        .offset:         16
        .size:           8
        .value_kind:     global_buffer
      - .actual_access:  read_only
        .address_space:  global
        .offset:         24
        .size:           8
        .value_kind:     global_buffer
      - .actual_access:  read_only
        .address_space:  global
        .offset:         32
        .size:           8
        .value_kind:     global_buffer
      - .offset:         40
        .size:           8
        .value_kind:     by_value
      - .address_space:  global
        .offset:         48
        .size:           8
        .value_kind:     global_buffer
      - .address_space:  global
        .offset:         56
        .size:           8
        .value_kind:     global_buffer
      - .address_space:  global
        .offset:         64
        .size:           8
        .value_kind:     global_buffer
      - .address_space:  global
        .offset:         72
        .size:           8
        .value_kind:     global_buffer
      - .offset:         80
        .size:           4
        .value_kind:     by_value
      - .address_space:  global
        .offset:         88
        .size:           8
        .value_kind:     global_buffer
      - .address_space:  global
        .offset:         96
        .size:           8
        .value_kind:     global_buffer
    .group_segment_fixed_size: 61440
    .kernarg_segment_align: 8
    .kernarg_segment_size: 104
    .language:       OpenCL C
    .language_version:
      - 2
      - 0
    .max_flat_workgroup_size: 240
    .name:           bluestein_single_back_len1920_dim1_dp_op_CI_CI
    .private_segment_fixed_size: 0
    .sgpr_count:     30
    .sgpr_spill_count: 0
    .symbol:         bluestein_single_back_len1920_dim1_dp_op_CI_CI.kd
    .uniform_work_group_size: 1
    .uses_dynamic_stack: false
    .vgpr_count:     317
    .vgpr_spill_count: 0
    .wavefront_size: 64
amdhsa.target:   amdgcn-amd-amdhsa--gfx950
amdhsa.version:
  - 1
  - 2
...

	.end_amdgpu_metadata
